;; amdgpu-corpus repo=ROCm/rocFFT kind=compiled arch=gfx1030 opt=O3
	.text
	.amdgcn_target "amdgcn-amd-amdhsa--gfx1030"
	.amdhsa_code_object_version 6
	.protected	bluestein_single_back_len1008_dim1_dp_op_CI_CI ; -- Begin function bluestein_single_back_len1008_dim1_dp_op_CI_CI
	.globl	bluestein_single_back_len1008_dim1_dp_op_CI_CI
	.p2align	8
	.type	bluestein_single_back_len1008_dim1_dp_op_CI_CI,@function
bluestein_single_back_len1008_dim1_dp_op_CI_CI: ; @bluestein_single_back_len1008_dim1_dp_op_CI_CI
; %bb.0:
	s_load_dwordx4 s[16:19], s[4:5], 0x28
	v_mul_u32_u24_e32 v1, 0x493, v0
	s_mov_b64 s[30:31], s[2:3]
	s_mov_b64 s[28:29], s[0:1]
	v_mov_b32_e32 v3, 0
	s_add_u32 s28, s28, s7
	v_lshrrev_b32_e32 v1, 16, v1
	s_addc_u32 s29, s29, 0
	s_mov_b32 s0, exec_lo
	v_add_nc_u32_e32 v2, s6, v1
	s_waitcnt lgkmcnt(0)
	v_cmpx_gt_u64_e64 s[16:17], v[2:3]
	s_cbranch_execz .LBB0_10
; %bb.1:
	s_clause 0x1
	s_load_dwordx4 s[0:3], s[4:5], 0x18
	s_load_dwordx4 s[12:15], s[4:5], 0x0
	v_mov_b32_e32 v7, v2
	v_mul_lo_u16 v1, v1, 56
                                        ; implicit-def: $vgpr244_vgpr245
                                        ; implicit-def: $vgpr248_vgpr249
                                        ; implicit-def: $vgpr252_vgpr253
	v_mov_b32_e32 v6, v7
	v_sub_nc_u16 v48, v0, v1
	v_and_b32_e32 v129, 0xffff, v48
	v_or_b32_e32 v12, 0x380, v129
	v_or_b32_e32 v92, 0x1c0, v129
	s_waitcnt lgkmcnt(0)
	s_load_dwordx4 s[8:11], s[0:1], 0x0
	buffer_store_dword v6, off, s[28:31], 0 ; 4-byte Folded Spill
	buffer_store_dword v7, off, s[28:31], 0 offset:4 ; 4-byte Folded Spill
	v_lshlrev_b32_e32 v128, 4, v129
	buffer_store_dword v12, off, s[28:31], 0 offset:8 ; 4-byte Folded Spill
	global_load_dwordx4 v[76:79], v128, s[12:13]
	s_waitcnt lgkmcnt(0)
	v_mad_u64_u32 v[0:1], null, s10, v2, 0
	v_mad_u64_u32 v[2:3], null, s8, v129, 0
	v_mad_u64_u32 v[4:5], null, s8, v12, 0
	s_mul_hi_u32 s6, s8, 0x1f80
	s_mul_i32 s1, s8, 0x1f80
	s_mul_i32 s10, s9, 0xffffe400
	;; [unrolled: 1-line block ×3, first 2 shown]
	v_mad_u64_u32 v[9:10], null, s9, v129, v[3:4]
	v_mov_b32_e32 v3, v9
	v_mad_u64_u32 v[6:7], null, s11, v7, v[1:2]
	v_mov_b32_e32 v1, v5
	v_mad_u64_u32 v[7:8], null, s8, v92, 0
	v_mad_u64_u32 v[10:11], null, s9, v12, v[1:2]
	v_mov_b32_e32 v1, v6
	v_lshlrev_b64 v[2:3], 4, v[2:3]
	v_mov_b32_e32 v5, v8
	v_lshlrev_b32_e32 v11, 4, v12
	v_lshlrev_b64 v[0:1], 4, v[0:1]
	v_mad_u64_u32 v[8:9], null, s9, v92, v[5:6]
	v_mov_b32_e32 v5, v10
	buffer_store_dword v11, off, s[28:31], 0 offset:308 ; 4-byte Folded Spill
	v_add_co_u32 v6, vcc_lo, s18, v0
	v_add_co_ci_u32_e32 v9, vcc_lo, s19, v1, vcc_lo
	v_lshlrev_b64 v[0:1], 4, v[4:5]
	v_add_co_u32 v2, vcc_lo, v6, v2
	v_add_co_ci_u32_e32 v3, vcc_lo, v9, v3, vcc_lo
	v_lshlrev_b32_e32 v4, 4, v92
	v_add_co_u32 v0, vcc_lo, v6, v0
	global_load_dwordx4 v[20:23], v[2:3], off
	v_add_co_ci_u32_e32 v1, vcc_lo, v9, v1, vcc_lo
	global_load_dwordx4 v[68:71], v11, s[12:13]
	global_load_dwordx4 v[24:27], v[0:1], off
	v_lshlrev_b64 v[0:1], 4, v[7:8]
	buffer_store_dword v4, off, s[28:31], 0 offset:304 ; 4-byte Folded Spill
	v_add_co_u32 v0, vcc_lo, v6, v0
	v_add_co_ci_u32_e32 v1, vcc_lo, v9, v1, vcc_lo
	global_load_dwordx4 v[72:75], v4, s[12:13]
	global_load_dwordx4 v[56:59], v[0:1], off
	v_add_co_u32 v4, s0, s12, v128
	v_add_co_ci_u32_e64 v5, null, s13, 0, s0
	s_mul_i32 s0, s9, 0x1f80
	v_add_co_u32 v0, vcc_lo, 0x1800, v4
	v_add_co_ci_u32_e32 v1, vcc_lo, 0, v5, vcc_lo
	s_add_i32 s0, s6, s0
	v_add_co_u32 v2, vcc_lo, v2, s1
	v_add_co_ci_u32_e32 v3, vcc_lo, s0, v3, vcc_lo
	s_mul_hi_u32 s6, s8, 0xffffe400
	global_load_dwordx4 v[80:83], v[0:1], off offset:1920
	global_load_dwordx4 v[60:63], v[2:3], off
	s_sub_i32 s6, s6, s8
	v_add_co_u32 v2, vcc_lo, v2, s7
	s_add_i32 s6, s6, s10
	v_add_co_ci_u32_e32 v3, vcc_lo, s6, v3, vcc_lo
	v_add_co_u32 v14, vcc_lo, 0x2000, v4
	v_add_co_ci_u32_e32 v15, vcc_lo, 0, v5, vcc_lo
	global_load_dwordx4 v[84:87], v128, s[12:13] offset:896
	global_load_dwordx4 v[64:67], v[2:3], off
	v_add_co_u32 v2, vcc_lo, v2, s1
	v_add_co_ci_u32_e32 v3, vcc_lo, s0, v3, vcc_lo
	global_load_dwordx4 v[93:96], v[14:15], off offset:768
	global_load_dwordx4 v[6:9], v[2:3], off
	v_add_co_u32 v2, vcc_lo, v2, s7
	v_add_co_ci_u32_e32 v3, vcc_lo, s6, v3, vcc_lo
	global_load_dwordx4 v[101:104], v128, s[12:13] offset:1792
	global_load_dwordx4 v[10:13], v[2:3], off
	v_add_co_u32 v2, vcc_lo, v2, s1
	v_add_co_ci_u32_e32 v3, vcc_lo, s0, v3, vcc_lo
	v_add_co_u32 v18, vcc_lo, 0x800, v4
	v_add_co_ci_u32_e32 v19, vcc_lo, 0, v5, vcc_lo
	global_load_dwordx4 v[97:100], v[14:15], off offset:1664
	global_load_dwordx4 v[14:17], v[2:3], off
	v_add_co_u32 v2, vcc_lo, v2, s7
	v_add_co_ci_u32_e32 v3, vcc_lo, s6, v3, vcc_lo
	v_add_co_u32 v40, vcc_lo, 0x2800, v4
	v_add_co_ci_u32_e32 v41, vcc_lo, 0, v5, vcc_lo
	global_load_dwordx4 v[113:116], v[18:19], off offset:640
	global_load_dwordx4 v[28:31], v[2:3], off
	v_add_co_u32 v2, vcc_lo, v2, s1
	v_add_co_ci_u32_e32 v3, vcc_lo, s0, v3, vcc_lo
	global_load_dwordx4 v[105:108], v[40:41], off offset:512
	global_load_dwordx4 v[32:35], v[2:3], off
	;; [unrolled: 4-line block ×4, first 2 shown]
	v_add_co_u32 v51, vcc_lo, 0x3800, v4
	v_add_co_ci_u32_e32 v52, vcc_lo, 0, v5, vcc_lo
	s_waitcnt vmcnt(22)
	v_mul_f64 v[2:3], v[22:23], v[78:79]
	v_mul_f64 v[44:45], v[20:21], v[78:79]
	s_waitcnt vmcnt(20)
	v_mul_f64 v[46:47], v[26:27], v[70:71]
	v_mul_f64 v[49:50], v[24:25], v[70:71]
	v_fma_f64 v[18:19], v[20:21], v[76:77], v[2:3]
	buffer_store_dword v76, off, s[28:31], 0 offset:48 ; 4-byte Folded Spill
	buffer_store_dword v77, off, s[28:31], 0 offset:52 ; 4-byte Folded Spill
	;; [unrolled: 1-line block ×4, first 2 shown]
	global_load_dwordx4 v[88:91], v[51:52], off offset:896
	s_waitcnt vmcnt(19)
	v_mul_f64 v[2:3], v[58:59], v[74:75]
	s_waitcnt vmcnt(15)
	v_mul_f64 v[51:52], v[64:65], v[86:87]
	v_fma_f64 v[20:21], v[22:23], v[76:77], -v[44:45]
	v_fma_f64 v[22:23], v[24:25], v[68:69], v[46:47]
	buffer_store_dword v68, off, s[28:31], 0 offset:16 ; 4-byte Folded Spill
	buffer_store_dword v69, off, s[28:31], 0 offset:20 ; 4-byte Folded Spill
	;; [unrolled: 1-line block ×4, first 2 shown]
	global_load_dwordx4 v[76:79], v[0:1], off offset:128
	v_fma_f64 v[0:1], v[56:57], v[72:73], v[2:3]
	v_mul_f64 v[46:47], v[60:61], v[82:83]
	v_fma_f64 v[24:25], v[26:27], v[68:69], -v[49:50]
	v_mul_f64 v[26:27], v[56:57], v[74:75]
	buffer_store_dword v72, off, s[28:31], 0 offset:32 ; 4-byte Folded Spill
	buffer_store_dword v73, off, s[28:31], 0 offset:36 ; 4-byte Folded Spill
	;; [unrolled: 1-line block ×4, first 2 shown]
	s_waitcnt vmcnt(14)
	v_mul_f64 v[55:56], v[6:7], v[95:96]
	v_fma_f64 v[2:3], v[58:59], v[72:73], -v[26:27]
	v_mul_f64 v[26:27], v[62:63], v[82:83]
	v_fma_f64 v[44:45], v[60:61], v[80:81], v[26:27]
	v_mul_f64 v[26:27], v[66:67], v[86:87]
	buffer_store_dword v80, off, s[28:31], 0 offset:64 ; 4-byte Folded Spill
	buffer_store_dword v81, off, s[28:31], 0 offset:68 ; 4-byte Folded Spill
	;; [unrolled: 1-line block ×4, first 2 shown]
	v_fma_f64 v[49:50], v[64:65], v[84:85], v[26:27]
	v_mul_f64 v[26:27], v[8:9], v[95:96]
	buffer_store_dword v84, off, s[28:31], 0 offset:80 ; 4-byte Folded Spill
	buffer_store_dword v85, off, s[28:31], 0 offset:84 ; 4-byte Folded Spill
	;; [unrolled: 1-line block ×4, first 2 shown]
	v_fma_f64 v[6:7], v[6:7], v[93:94], v[26:27]
	buffer_store_dword v93, off, s[28:31], 0 offset:128 ; 4-byte Folded Spill
	buffer_store_dword v94, off, s[28:31], 0 offset:132 ; 4-byte Folded Spill
	;; [unrolled: 1-line block ×4, first 2 shown]
	s_waitcnt vmcnt(12)
	v_mul_f64 v[26:27], v[12:13], v[103:104]
	v_fma_f64 v[46:47], v[62:63], v[80:81], -v[46:47]
	v_fma_f64 v[51:52], v[66:67], v[84:85], -v[51:52]
	;; [unrolled: 1-line block ×3, first 2 shown]
	v_mul_f64 v[55:56], v[10:11], v[103:104]
	v_fma_f64 v[10:11], v[10:11], v[101:102], v[26:27]
	buffer_store_dword v101, off, s[28:31], 0 offset:160 ; 4-byte Folded Spill
	buffer_store_dword v102, off, s[28:31], 0 offset:164 ; 4-byte Folded Spill
	;; [unrolled: 1-line block ×4, first 2 shown]
	s_waitcnt vmcnt(10)
	v_mul_f64 v[26:27], v[16:17], v[99:100]
	v_fma_f64 v[12:13], v[12:13], v[101:102], -v[55:56]
	v_mul_f64 v[55:56], v[14:15], v[99:100]
	v_fma_f64 v[14:15], v[14:15], v[97:98], v[26:27]
	buffer_store_dword v97, off, s[28:31], 0 offset:144 ; 4-byte Folded Spill
	buffer_store_dword v98, off, s[28:31], 0 offset:148 ; 4-byte Folded Spill
	;; [unrolled: 1-line block ×4, first 2 shown]
	s_waitcnt vmcnt(8)
	v_mul_f64 v[26:27], v[30:31], v[115:116]
	v_fma_f64 v[26:27], v[28:29], v[113:114], v[26:27]
	v_fma_f64 v[16:17], v[16:17], v[97:98], -v[55:56]
	v_mul_f64 v[55:56], v[28:29], v[115:116]
	buffer_store_dword v113, off, s[28:31], 0 offset:208 ; 4-byte Folded Spill
	buffer_store_dword v114, off, s[28:31], 0 offset:212 ; 4-byte Folded Spill
	buffer_store_dword v115, off, s[28:31], 0 offset:216 ; 4-byte Folded Spill
	buffer_store_dword v116, off, s[28:31], 0 offset:220 ; 4-byte Folded Spill
	v_fma_f64 v[28:29], v[30:31], v[113:114], -v[55:56]
	s_waitcnt vmcnt(6)
	v_mul_f64 v[30:31], v[34:35], v[107:108]
	v_mul_f64 v[55:56], v[32:33], v[107:108]
	v_fma_f64 v[30:31], v[32:33], v[105:106], v[30:31]
	buffer_store_dword v105, off, s[28:31], 0 offset:176 ; 4-byte Folded Spill
	buffer_store_dword v106, off, s[28:31], 0 offset:180 ; 4-byte Folded Spill
	buffer_store_dword v107, off, s[28:31], 0 offset:184 ; 4-byte Folded Spill
	buffer_store_dword v108, off, s[28:31], 0 offset:188 ; 4-byte Folded Spill
	v_fma_f64 v[32:33], v[34:35], v[105:106], -v[55:56]
	s_waitcnt vmcnt(4)
	v_mul_f64 v[34:35], v[38:39], v[111:112]
	v_mul_f64 v[55:56], v[36:37], v[111:112]
	v_fma_f64 v[34:35], v[36:37], v[109:110], v[34:35]
	;; [unrolled: 9-line block ×3, first 2 shown]
	buffer_store_dword v117, off, s[28:31], 0 offset:224 ; 4-byte Folded Spill
	buffer_store_dword v118, off, s[28:31], 0 offset:228 ; 4-byte Folded Spill
	;; [unrolled: 1-line block ×4, first 2 shown]
	v_fma_f64 v[40:41], v[42:43], v[117:118], -v[55:56]
	v_add_co_u32 v42, vcc_lo, 0x1000, v4
	v_add_co_ci_u32_e32 v43, vcc_lo, 0, v5, vcc_lo
	v_add_co_u32 v57, vcc_lo, v53, s7
	v_add_co_ci_u32_e32 v58, vcc_lo, s6, v54, vcc_lo
	s_clause 0x1
	global_load_dwordx4 v[61:64], v[42:43], off offset:384
	global_load_dwordx4 v[67:70], v[42:43], off offset:1280
	global_load_dwordx4 v[53:56], v[57:58], off
	s_waitcnt vmcnt(0)
	v_mul_f64 v[42:43], v[55:56], v[63:64]
	v_mul_f64 v[59:60], v[53:54], v[63:64]
	v_fma_f64 v[53:54], v[53:54], v[61:62], v[42:43]
	buffer_store_dword v61, off, s[28:31], 0 offset:272 ; 4-byte Folded Spill
	buffer_store_dword v62, off, s[28:31], 0 offset:276 ; 4-byte Folded Spill
	;; [unrolled: 1-line block ×4, first 2 shown]
	v_add_co_u32 v42, vcc_lo, v57, s1
	v_add_co_ci_u32_e32 v43, vcc_lo, s0, v58, vcc_lo
	v_add_co_u32 v4, vcc_lo, 0x3000, v4
	v_add_co_ci_u32_e32 v5, vcc_lo, 0, v5, vcc_lo
	v_fma_f64 v[55:56], v[55:56], v[61:62], -v[59:60]
	s_clause 0x1
	global_load_dwordx4 v[63:66], v[4:5], off offset:256
	global_load_dwordx4 v[71:74], v[4:5], off offset:1152
	global_load_dwordx4 v[57:60], v[42:43], off
	s_waitcnt vmcnt(0)
	v_mul_f64 v[4:5], v[59:60], v[65:66]
	v_mul_f64 v[61:62], v[57:58], v[65:66]
	v_fma_f64 v[57:58], v[57:58], v[63:64], v[4:5]
	buffer_store_dword v63, off, s[28:31], 0 offset:288 ; 4-byte Folded Spill
	buffer_store_dword v64, off, s[28:31], 0 offset:292 ; 4-byte Folded Spill
	;; [unrolled: 1-line block ×4, first 2 shown]
	v_add_co_u32 v4, vcc_lo, v42, s7
	v_add_co_ci_u32_e32 v5, vcc_lo, s6, v43, vcc_lo
	v_fma_f64 v[59:60], v[59:60], v[63:64], -v[61:62]
	global_load_dwordx4 v[61:64], v[4:5], off
	v_add_co_u32 v4, vcc_lo, v4, s1
	v_add_co_ci_u32_e32 v5, vcc_lo, s0, v5, vcc_lo
	s_mov_b32 s0, 0xe8584caa
	s_mov_b32 s1, 0x3febb67a
	s_waitcnt vmcnt(0)
	v_mul_f64 v[42:43], v[63:64], v[69:70]
	v_mul_f64 v[65:66], v[61:62], v[69:70]
	v_fma_f64 v[61:62], v[61:62], v[67:68], v[42:43]
	buffer_store_dword v67, off, s[28:31], 0 offset:256 ; 4-byte Folded Spill
	buffer_store_dword v68, off, s[28:31], 0 offset:260 ; 4-byte Folded Spill
	;; [unrolled: 1-line block ×4, first 2 shown]
	v_fma_f64 v[63:64], v[63:64], v[67:68], -v[65:66]
	global_load_dwordx4 v[65:68], v[4:5], off
	v_add_co_u32 v4, vcc_lo, v4, s7
	v_add_co_ci_u32_e32 v5, vcc_lo, s6, v5, vcc_lo
	v_cmp_gt_u16_e32 vcc_lo, 48, v48
	s_waitcnt vmcnt(0)
	v_mul_f64 v[42:43], v[67:68], v[73:74]
	v_mul_f64 v[69:70], v[65:66], v[73:74]
	v_fma_f64 v[65:66], v[65:66], v[71:72], v[42:43]
	buffer_store_dword v71, off, s[28:31], 0 offset:240 ; 4-byte Folded Spill
	buffer_store_dword v72, off, s[28:31], 0 offset:244 ; 4-byte Folded Spill
	;; [unrolled: 1-line block ×4, first 2 shown]
	v_fma_f64 v[67:68], v[67:68], v[71:72], -v[69:70]
	global_load_dwordx4 v[69:72], v[4:5], off
	v_mad_u64_u32 v[4:5], null, 0x2300, s8, v[4:5]
	s_waitcnt vmcnt(0)
	v_mul_f64 v[42:43], v[71:72], v[78:79]
	v_mul_f64 v[73:74], v[69:70], v[78:79]
	v_fma_f64 v[69:70], v[69:70], v[76:77], v[42:43]
	buffer_store_dword v76, off, s[28:31], 0 offset:112 ; 4-byte Folded Spill
	buffer_store_dword v77, off, s[28:31], 0 offset:116 ; 4-byte Folded Spill
	;; [unrolled: 1-line block ×4, first 2 shown]
	v_mad_u64_u32 v[42:43], null, 0x2300, s9, v[5:6]
	v_mov_b32_e32 v5, v42
	v_fma_f64 v[71:72], v[71:72], v[76:77], -v[73:74]
	global_load_dwordx4 v[73:76], v[4:5], off
	s_waitcnt vmcnt(0)
	v_mul_f64 v[4:5], v[75:76], v[90:91]
	v_mul_f64 v[42:43], v[73:74], v[90:91]
	v_fma_f64 v[73:74], v[73:74], v[88:89], v[4:5]
	buffer_store_dword v88, off, s[28:31], 0 offset:96 ; 4-byte Folded Spill
	buffer_store_dword v89, off, s[28:31], 0 offset:100 ; 4-byte Folded Spill
	;; [unrolled: 1-line block ×4, first 2 shown]
	ds_write_b128 v128, v[18:21]
	ds_write_b128 v128, v[22:25] offset:14336
	ds_write_b128 v128, v[0:3] offset:7168
	;; [unrolled: 1-line block ×7, first 2 shown]
	s_load_dwordx4 s[8:11], s[2:3], 0x0
	s_mov_b32 s3, 0xbfebb67a
	s_mov_b32 s2, s0
	v_fma_f64 v[75:76], v[75:76], v[88:89], -v[42:43]
	ds_write_b128 v128, v[26:29] offset:2688
	ds_write_b128 v128, v[30:33] offset:10752
	;; [unrolled: 1-line block ×10, first 2 shown]
	s_waitcnt lgkmcnt(0)
	s_waitcnt_vscnt null, 0x0
	s_barrier
	buffer_gl0_inv
	ds_read_b128 v[0:3], v128 offset:8064
	ds_read_b128 v[4:7], v128
	ds_read_b128 v[8:11], v128 offset:896
	ds_read_b128 v[12:15], v128 offset:8960
	;; [unrolled: 1-line block ×12, first 2 shown]
	s_waitcnt lgkmcnt(12)
	v_add_f64 v[0:1], v[4:5], -v[0:1]
	v_add_f64 v[2:3], v[6:7], -v[2:3]
	s_waitcnt lgkmcnt(10)
	v_add_f64 v[12:13], v[8:9], -v[12:13]
	v_add_f64 v[14:15], v[10:11], -v[14:15]
	;; [unrolled: 3-line block ×4, first 2 shown]
	s_waitcnt lgkmcnt(3)
	v_add_f64 v[36:37], v[40:41], -v[36:37]
	s_waitcnt lgkmcnt(1)
	v_add_f64 v[57:58], v[44:45], -v[49:50]
	v_add_f64 v[59:60], v[46:47], -v[51:52]
	ds_read_b128 v[49:52], v128 offset:5376
	ds_read_b128 v[61:64], v128 offset:6272
	;; [unrolled: 1-line block ×4, first 2 shown]
	v_add_f64 v[38:39], v[42:43], -v[38:39]
	s_waitcnt lgkmcnt(0)
	s_barrier
	buffer_gl0_inv
	v_fma_f64 v[4:5], v[4:5], 2.0, -v[0:1]
	v_fma_f64 v[6:7], v[6:7], 2.0, -v[2:3]
	;; [unrolled: 1-line block ×8, first 2 shown]
	v_add_f64 v[53:54], v[49:50], -v[53:54]
	v_add_f64 v[55:56], v[51:52], -v[55:56]
	v_add_f64 v[65:66], v[61:62], -v[65:66]
	v_add_f64 v[67:68], v[63:64], -v[67:68]
	v_add_f64 v[73:74], v[32:33], -v[69:70]
	v_add_f64 v[75:76], v[34:35], -v[71:72]
	v_fma_f64 v[40:41], v[40:41], 2.0, -v[36:37]
	v_fma_f64 v[42:43], v[42:43], 2.0, -v[38:39]
	v_add_co_u32 v70, null, 0x70, v129
	v_fma_f64 v[44:45], v[44:45], 2.0, -v[57:58]
	v_fma_f64 v[46:47], v[46:47], 2.0, -v[59:60]
	;; [unrolled: 1-line block ×4, first 2 shown]
	v_lshlrev_b32_e32 v49, 5, v129
	v_add_co_u32 v52, null, v129, 56
	v_add_co_u32 v51, null, 0xa8, v129
	ds_write_b128 v49, v[0:3] offset:16
	v_lshlrev_b32_e32 v0, 5, v52
	ds_write_b128 v49, v[4:7]
	v_fma_f64 v[61:62], v[61:62], 2.0, -v[65:66]
	v_fma_f64 v[63:64], v[63:64], 2.0, -v[67:68]
	;; [unrolled: 1-line block ×3, first 2 shown]
	ds_write_b128 v0, v[8:11]
	buffer_store_dword v0, off, s[28:31], 0 offset:364 ; 4-byte Folded Spill
	ds_write_b128 v0, v[12:15] offset:16
	v_lshlrev_b32_e32 v0, 5, v70
	v_fma_f64 v[34:35], v[34:35], 2.0, -v[75:76]
	v_add_co_u32 v50, null, 0xe0, v129
	v_add_co_u32 v49, null, 0x118, v129
	ds_write_b128 v0, v[20:23]
	buffer_store_dword v0, off, s[28:31], 0 offset:360 ; 4-byte Folded Spill
	ds_write_b128 v0, v[16:19] offset:16
	v_lshlrev_b32_e32 v0, 5, v51
	v_lshlrev_b32_e32 v2, 1, v129
	;; [unrolled: 1-line block ×3, first 2 shown]
	v_and_b32_e32 v9, 1, v129
	v_lshlrev_b32_e32 v5, 5, v92
	ds_write_b128 v0, v[24:27]
	buffer_store_dword v0, off, s[28:31], 0 offset:332 ; 4-byte Folded Spill
	ds_write_b128 v0, v[28:31] offset:16
	v_lshlrev_b32_e32 v0, 5, v50
	v_add_nc_u32_e32 v1, 0x2a0, v2
	v_lshlrev_b32_e32 v3, 4, v2
	buffer_store_dword v4, off, s[28:31], 0 offset:320 ; 4-byte Folded Spill
	ds_write_b128 v0, v[40:43]
	buffer_store_dword v0, off, s[28:31], 0 offset:328 ; 4-byte Folded Spill
	ds_write_b128 v0, v[36:39] offset:16
	v_add_nc_u32_e32 v0, 0x310, v2
	ds_write_b128 v4, v[44:47]
	ds_write_b128 v4, v[57:60] offset:16
	v_lshlrev_b32_e32 v7, 4, v1
	v_lshlrev_b32_e32 v4, 4, v9
	;; [unrolled: 1-line block ×3, first 2 shown]
	ds_write_b128 v3, v[77:80] offset:10752
	buffer_store_dword v7, off, s[28:31], 0 offset:324 ; 4-byte Folded Spill
	ds_write_b128 v7, v[53:56] offset:16
	ds_write_b128 v3, v[61:64] offset:12544
	buffer_store_dword v6, off, s[28:31], 0 offset:316 ; 4-byte Folded Spill
	ds_write_b128 v6, v[65:68] offset:16
	ds_write_b128 v5, v[32:35]
	buffer_store_dword v5, off, s[28:31], 0 offset:312 ; 4-byte Folded Spill
	ds_write_b128 v5, v[73:76] offset:16
	s_waitcnt lgkmcnt(0)
	s_waitcnt_vscnt null, 0x0
	s_barrier
	buffer_gl0_inv
	global_load_dwordx4 v[72:75], v4, s[14:15]
	ds_read_b128 v[3:6], v128 offset:8064
	ds_read_b128 v[10:13], v128 offset:7168
	;; [unrolled: 1-line block ×4, first 2 shown]
	s_waitcnt vmcnt(0) lgkmcnt(3)
	v_mul_f64 v[7:8], v[5:6], v[74:75]
	v_mul_f64 v[22:23], v[3:4], v[74:75]
	v_fma_f64 v[7:8], v[3:4], v[72:73], -v[7:8]
	v_fma_f64 v[22:23], v[5:6], v[72:73], v[22:23]
	s_waitcnt lgkmcnt(1)
	v_mul_f64 v[3:4], v[16:17], v[74:75]
	v_mul_f64 v[5:6], v[14:15], v[74:75]
	v_fma_f64 v[24:25], v[14:15], v[72:73], -v[3:4]
	v_fma_f64 v[26:27], v[16:17], v[72:73], v[5:6]
	s_waitcnt lgkmcnt(0)
	v_mul_f64 v[3:4], v[20:21], v[74:75]
	v_mul_f64 v[5:6], v[18:19], v[74:75]
	v_fma_f64 v[34:35], v[18:19], v[72:73], -v[3:4]
	v_fma_f64 v[36:37], v[20:21], v[72:73], v[5:6]
	ds_read_b128 v[3:6], v128 offset:10752
	ds_read_b128 v[14:17], v128 offset:11648
	s_waitcnt lgkmcnt(1)
	v_mul_f64 v[18:19], v[5:6], v[74:75]
	v_fma_f64 v[38:39], v[3:4], v[72:73], -v[18:19]
	v_mul_f64 v[3:4], v[3:4], v[74:75]
	v_fma_f64 v[40:41], v[5:6], v[72:73], v[3:4]
	s_waitcnt lgkmcnt(0)
	v_mul_f64 v[3:4], v[16:17], v[74:75]
	v_fma_f64 v[46:47], v[14:15], v[72:73], -v[3:4]
	v_mul_f64 v[3:4], v[14:15], v[74:75]
	v_fma_f64 v[59:60], v[16:17], v[72:73], v[3:4]
	ds_read_b128 v[3:6], v128 offset:12544
	ds_read_b128 v[14:17], v128 offset:13440
	s_waitcnt lgkmcnt(1)
	v_mul_f64 v[18:19], v[5:6], v[74:75]
	v_fma_f64 v[61:62], v[3:4], v[72:73], -v[18:19]
	v_mul_f64 v[3:4], v[3:4], v[74:75]
	v_fma_f64 v[63:64], v[5:6], v[72:73], v[3:4]
	s_waitcnt lgkmcnt(0)
	v_mul_f64 v[3:4], v[16:17], v[74:75]
	v_fma_f64 v[80:81], v[14:15], v[72:73], -v[3:4]
	v_mul_f64 v[3:4], v[14:15], v[74:75]
	;; [unrolled: 12-line block ×3, first 2 shown]
	v_add_f64 v[88:89], v[10:11], -v[88:89]
	v_fma_f64 v[90:91], v[16:17], v[72:73], v[3:4]
	ds_read_b128 v[3:6], v128
	ds_read_b128 v[14:17], v128 offset:896
	s_waitcnt lgkmcnt(1)
	v_add_f64 v[18:19], v[3:4], -v[7:8]
	v_add_f64 v[20:21], v[5:6], -v[22:23]
	s_waitcnt lgkmcnt(0)
	v_add_f64 v[22:23], v[14:15], -v[24:25]
	v_add_f64 v[24:25], v[16:17], -v[26:27]
	ds_read_b128 v[26:29], v128 offset:1792
	ds_read_b128 v[30:33], v128 offset:2688
	v_and_or_b32 v7, 0x7c, v2, v9
	ds_read_b128 v[42:45], v128 offset:3584
	ds_read_b128 v[53:56], v128 offset:4480
	;; [unrolled: 1-line block ×4, first 2 shown]
	s_waitcnt lgkmcnt(0)
	s_barrier
	v_lshlrev_b32_e32 v7, 4, v7
	buffer_gl0_inv
	v_add_f64 v[90:91], v[12:13], -v[90:91]
	v_fma_f64 v[10:11], v[10:11], 2.0, -v[88:89]
	buffer_store_dword v92, off, s[28:31], 0 offset:12 ; 4-byte Folded Spill
	buffer_store_dword v7, off, s[28:31], 0 offset:400 ; 4-byte Folded Spill
	v_fma_f64 v[3:4], v[3:4], 2.0, -v[18:19]
	v_fma_f64 v[5:6], v[5:6], 2.0, -v[20:21]
	v_add_f64 v[34:35], v[26:27], -v[34:35]
	v_add_f64 v[36:37], v[28:29], -v[36:37]
	v_fma_f64 v[14:15], v[14:15], 2.0, -v[22:23]
	v_fma_f64 v[16:17], v[16:17], 2.0, -v[24:25]
	v_add_f64 v[38:39], v[30:31], -v[38:39]
	v_add_f64 v[40:41], v[32:33], -v[40:41]
	ds_write_b128 v7, v[18:21] offset:32
	v_add_f64 v[57:58], v[42:43], -v[46:47]
	v_add_f64 v[59:60], v[44:45], -v[59:60]
	;; [unrolled: 1-line block ×8, first 2 shown]
	v_fma_f64 v[12:13], v[12:13], 2.0, -v[90:91]
	ds_write_b128 v7, v[3:6]
	v_lshlrev_b32_e32 v3, 1, v52
	v_fma_f64 v[26:27], v[26:27], 2.0, -v[34:35]
	v_fma_f64 v[28:29], v[28:29], 2.0, -v[36:37]
	;; [unrolled: 1-line block ×3, first 2 shown]
	v_and_or_b32 v4, 0xfc, v3, v9
	v_fma_f64 v[32:33], v[32:33], 2.0, -v[40:41]
	v_fma_f64 v[42:43], v[42:43], 2.0, -v[57:58]
	;; [unrolled: 1-line block ×4, first 2 shown]
	v_lshlrev_b32_e32 v4, 4, v4
	v_fma_f64 v[55:56], v[55:56], 2.0, -v[63:64]
	v_fma_f64 v[65:66], v[65:66], 2.0, -v[80:81]
	;; [unrolled: 1-line block ×4, first 2 shown]
	ds_write_b128 v4, v[14:17]
	buffer_store_dword v4, off, s[28:31], 0 offset:396 ; 4-byte Folded Spill
	ds_write_b128 v4, v[22:25] offset:32
	v_lshlrev_b32_e32 v4, 1, v70
	v_fma_f64 v[78:79], v[78:79], 2.0, -v[86:87]
	v_and_or_b32 v5, 0x1fc, v4, v9
	v_lshlrev_b32_e32 v5, 4, v5
	ds_write_b128 v5, v[26:29]
	buffer_store_dword v5, off, s[28:31], 0 offset:392 ; 4-byte Folded Spill
	ds_write_b128 v5, v[34:37] offset:32
	v_lshlrev_b32_e32 v5, 1, v51
	v_and_or_b32 v6, 0x1fc, v5, v9
	v_lshlrev_b32_e32 v6, 4, v6
	ds_write_b128 v6, v[30:33]
	buffer_store_dword v6, off, s[28:31], 0 offset:388 ; 4-byte Folded Spill
	ds_write_b128 v6, v[38:41] offset:32
	v_lshlrev_b32_e32 v6, 1, v50
	;; [unrolled: 6-line block ×3, first 2 shown]
	v_and_or_b32 v8, 0x2fc, v7, v9
	v_lshlrev_b32_e32 v8, 4, v8
	ds_write_b128 v8, v[53:56]
	buffer_store_dword v8, off, s[28:31], 0 offset:380 ; 4-byte Folded Spill
	ds_write_b128 v8, v[61:64] offset:32
	v_and_or_b32 v8, 0x3fc, v1, v9
	v_lshlrev_b32_e32 v8, 4, v8
	ds_write_b128 v8, v[65:68]
	buffer_store_dword v8, off, s[28:31], 0 offset:376 ; 4-byte Folded Spill
	ds_write_b128 v8, v[80:83] offset:32
	;; [unrolled: 5-line block ×3, first 2 shown]
	v_lshlrev_b32_e32 v8, 1, v92
	v_and_or_b32 v9, 0x3fc, v8, v9
	v_lshlrev_b32_e32 v14, 4, v9
	v_and_b32_e32 v9, 3, v129
	ds_write_b128 v14, v[10:13]
	v_lshlrev_b32_e32 v10, 4, v9
	buffer_store_dword v14, off, s[28:31], 0 offset:368 ; 4-byte Folded Spill
	ds_write_b128 v14, v[88:91] offset:32
	s_waitcnt lgkmcnt(0)
	s_waitcnt_vscnt null, 0x0
	s_barrier
	buffer_gl0_inv
	global_load_dwordx4 v[76:79], v10, s[14:15] offset:32
	ds_read_b128 v[10:13], v128 offset:8064
	ds_read_b128 v[14:17], v128 offset:7168
	s_waitcnt vmcnt(0) lgkmcnt(1)
	v_mul_f64 v[18:19], v[12:13], v[78:79]
	v_fma_f64 v[22:23], v[10:11], v[76:77], -v[18:19]
	v_mul_f64 v[10:11], v[10:11], v[78:79]
	v_fma_f64 v[24:25], v[12:13], v[76:77], v[10:11]
	ds_read_b128 v[10:13], v128 offset:8960
	ds_read_b128 v[18:21], v128 offset:9856
	s_waitcnt lgkmcnt(1)
	v_mul_f64 v[26:27], v[12:13], v[78:79]
	v_fma_f64 v[26:27], v[10:11], v[76:77], -v[26:27]
	v_mul_f64 v[10:11], v[10:11], v[78:79]
	v_fma_f64 v[28:29], v[12:13], v[76:77], v[10:11]
	s_waitcnt lgkmcnt(0)
	v_mul_f64 v[10:11], v[20:21], v[78:79]
	v_fma_f64 v[38:39], v[18:19], v[76:77], -v[10:11]
	v_mul_f64 v[10:11], v[18:19], v[78:79]
	v_fma_f64 v[40:41], v[20:21], v[76:77], v[10:11]
	ds_read_b128 v[10:13], v128 offset:10752
	ds_read_b128 v[18:21], v128 offset:11648
	s_waitcnt lgkmcnt(1)
	v_mul_f64 v[30:31], v[12:13], v[78:79]
	v_fma_f64 v[42:43], v[10:11], v[76:77], -v[30:31]
	v_mul_f64 v[10:11], v[10:11], v[78:79]
	v_fma_f64 v[44:45], v[12:13], v[76:77], v[10:11]
	s_waitcnt lgkmcnt(0)
	;; [unrolled: 12-line block ×4, first 2 shown]
	v_mul_f64 v[10:11], v[20:21], v[78:79]
	v_fma_f64 v[96:97], v[18:19], v[76:77], -v[10:11]
	v_mul_f64 v[10:11], v[18:19], v[78:79]
	v_add_f64 v[96:97], v[14:15], -v[96:97]
	v_fma_f64 v[98:99], v[20:21], v[76:77], v[10:11]
	ds_read_b128 v[10:13], v128
	ds_read_b128 v[18:21], v128 offset:896
	ds_read_b128 v[30:33], v128 offset:1792
	;; [unrolled: 1-line block ×7, first 2 shown]
	s_waitcnt lgkmcnt(0)
	s_barrier
	buffer_gl0_inv
	v_add_f64 v[22:23], v[10:11], -v[22:23]
	v_add_f64 v[24:25], v[12:13], -v[24:25]
	;; [unrolled: 1-line block ×9, first 2 shown]
	v_and_or_b32 v46, 0x78, v2, v9
	v_add_f64 v[63:64], v[55:56], -v[63:64]
	v_add_f64 v[65:66], v[57:58], -v[65:66]
	;; [unrolled: 1-line block ×4, first 2 shown]
	v_lshlrev_b32_e32 v46, 4, v46
	v_add_f64 v[90:91], v[82:83], -v[90:91]
	v_add_f64 v[92:93], v[84:85], -v[92:93]
	;; [unrolled: 1-line block ×4, first 2 shown]
	v_fma_f64 v[14:15], v[14:15], 2.0, -v[96:97]
	buffer_store_dword v46, off, s[28:31], 0 offset:528 ; 4-byte Folded Spill
	v_fma_f64 v[10:11], v[10:11], 2.0, -v[22:23]
	v_fma_f64 v[12:13], v[12:13], 2.0, -v[24:25]
	;; [unrolled: 1-line block ×8, first 2 shown]
	ds_write_b128 v46, v[22:25] offset:64
	v_fma_f64 v[53:54], v[53:54], 2.0, -v[61:62]
	v_fma_f64 v[55:56], v[55:56], 2.0, -v[63:64]
	;; [unrolled: 1-line block ×9, first 2 shown]
	ds_write_b128 v46, v[10:13]
	v_and_or_b32 v10, 0xf8, v3, v9
	v_lshlrev_b32_e32 v10, 4, v10
	ds_write_b128 v10, v[18:21]
	buffer_store_dword v10, off, s[28:31], 0 offset:508 ; 4-byte Folded Spill
	ds_write_b128 v10, v[26:29] offset:64
	v_and_or_b32 v10, 0x1f8, v4, v9
	v_lshlrev_b32_e32 v10, 4, v10
	ds_write_b128 v10, v[30:33]
	buffer_store_dword v10, off, s[28:31], 0 offset:504 ; 4-byte Folded Spill
	ds_write_b128 v10, v[38:41] offset:64
	;; [unrolled: 5-line block ×6, first 2 shown]
	v_and_or_b32 v10, 0x3f8, v0, v9
	v_and_or_b32 v9, 0x3f8, v8, v9
	v_lshlrev_b32_e32 v10, 4, v10
	v_lshlrev_b32_e32 v9, 4, v9
	ds_write_b128 v10, v[84:87]
	ds_write_b128 v10, v[92:95] offset:64
	ds_write_b128 v9, v[14:17]
	buffer_store_dword v9, off, s[28:31], 0 offset:472 ; 4-byte Folded Spill
	ds_write_b128 v9, v[96:99] offset:64
	v_and_b32_e32 v9, 7, v129
	buffer_store_dword v10, off, s[28:31], 0 offset:476 ; 4-byte Folded Spill
	s_waitcnt lgkmcnt(0)
	s_waitcnt_vscnt null, 0x0
	s_barrier
	buffer_gl0_inv
	v_lshlrev_b32_e32 v10, 4, v9
	v_and_or_b32 v2, 0x70, v2, v9
	v_and_or_b32 v1, 0x3f0, v1, v9
	;; [unrolled: 1-line block ×3, first 2 shown]
	global_load_dwordx4 v[80:83], v10, s[14:15] offset:96
	ds_read_b128 v[10:13], v128 offset:8064
	ds_read_b128 v[14:17], v128 offset:7168
	v_lshlrev_b32_e32 v2, 4, v2
	v_lshlrev_b32_e32 v1, 4, v1
	;; [unrolled: 1-line block ×3, first 2 shown]
	s_waitcnt vmcnt(0) lgkmcnt(1)
	v_mul_f64 v[18:19], v[12:13], v[82:83]
	v_fma_f64 v[22:23], v[10:11], v[80:81], -v[18:19]
	v_mul_f64 v[10:11], v[10:11], v[82:83]
	v_fma_f64 v[24:25], v[12:13], v[80:81], v[10:11]
	ds_read_b128 v[10:13], v128 offset:8960
	ds_read_b128 v[18:21], v128 offset:9856
	s_waitcnt lgkmcnt(1)
	v_mul_f64 v[26:27], v[12:13], v[82:83]
	v_fma_f64 v[26:27], v[10:11], v[80:81], -v[26:27]
	v_mul_f64 v[10:11], v[10:11], v[82:83]
	v_fma_f64 v[28:29], v[12:13], v[80:81], v[10:11]
	s_waitcnt lgkmcnt(0)
	v_mul_f64 v[10:11], v[20:21], v[82:83]
	v_fma_f64 v[38:39], v[18:19], v[80:81], -v[10:11]
	v_mul_f64 v[10:11], v[18:19], v[82:83]
	v_fma_f64 v[40:41], v[20:21], v[80:81], v[10:11]
	ds_read_b128 v[10:13], v128 offset:10752
	ds_read_b128 v[18:21], v128 offset:11648
	s_waitcnt lgkmcnt(1)
	v_mul_f64 v[30:31], v[12:13], v[82:83]
	v_fma_f64 v[42:43], v[10:11], v[80:81], -v[30:31]
	v_mul_f64 v[10:11], v[10:11], v[82:83]
	v_fma_f64 v[44:45], v[12:13], v[80:81], v[10:11]
	s_waitcnt lgkmcnt(0)
	;; [unrolled: 12-line block ×4, first 2 shown]
	v_mul_f64 v[10:11], v[20:21], v[82:83]
	v_fma_f64 v[100:101], v[18:19], v[80:81], -v[10:11]
	v_mul_f64 v[10:11], v[18:19], v[82:83]
	v_add_f64 v[100:101], v[14:15], -v[100:101]
	v_fma_f64 v[102:103], v[20:21], v[80:81], v[10:11]
	ds_read_b128 v[10:13], v128
	ds_read_b128 v[18:21], v128 offset:896
	ds_read_b128 v[30:33], v128 offset:1792
	;; [unrolled: 1-line block ×7, first 2 shown]
	s_waitcnt lgkmcnt(0)
	s_barrier
	buffer_gl0_inv
	buffer_store_dword v2, off, s[28:31], 0 offset:460 ; 4-byte Folded Spill
	buffer_store_dword v0, off, s[28:31], 0 offset:440 ; 4-byte Folded Spill
	buffer_store_dword v1, off, s[28:31], 0 offset:420 ; 4-byte Folded Spill
	v_add_f64 v[22:23], v[10:11], -v[22:23]
	v_add_f64 v[24:25], v[12:13], -v[24:25]
	;; [unrolled: 1-line block ×17, first 2 shown]
	v_fma_f64 v[14:15], v[14:15], 2.0, -v[100:101]
	v_fma_f64 v[10:11], v[10:11], 2.0, -v[22:23]
	;; [unrolled: 1-line block ×7, first 2 shown]
	ds_write_b128 v2, v[22:25] offset:128
	v_fma_f64 v[34:35], v[34:35], 2.0, -v[42:43]
	v_fma_f64 v[36:37], v[36:37], 2.0, -v[44:45]
	;; [unrolled: 1-line block ×11, first 2 shown]
	ds_write_b128 v2, v[10:13]
	v_and_or_b32 v2, 0xf0, v3, v9
	v_lshlrev_b32_e32 v2, 4, v2
	ds_write_b128 v2, v[18:21]
	buffer_store_dword v2, off, s[28:31], 0 offset:468 ; 4-byte Folded Spill
	ds_write_b128 v2, v[26:29] offset:128
	v_and_or_b32 v2, 0x1f0, v4, v9
	v_lshlrev_b32_e32 v2, 4, v2
	ds_write_b128 v2, v[30:33]
	buffer_store_dword v2, off, s[28:31], 0 offset:464 ; 4-byte Folded Spill
	ds_write_b128 v2, v[38:41] offset:128
	;; [unrolled: 5-line block ×4, first 2 shown]
	v_and_or_b32 v2, 0x2f0, v7, v9
	v_and_b32_e32 v53, 15, v129
	v_and_b32_e32 v55, 15, v52
	;; [unrolled: 1-line block ×4, first 2 shown]
	v_lshlrev_b32_e32 v2, 4, v2
	v_lshlrev_b32_e32 v36, 5, v54
	ds_write_b128 v2, v[57:60]
	ds_write_b128 v2, v[65:68] offset:128
	ds_write_b128 v1, v[84:87]
	ds_write_b128 v1, v[92:95] offset:128
	;; [unrolled: 2-line block ×3, first 2 shown]
	v_and_or_b32 v0, 0x3f0, v8, v9
	buffer_store_dword v2, off, s[28:31], 0 offset:448 ; 4-byte Folded Spill
	v_lshlrev_b32_e32 v0, 4, v0
	ds_write_b128 v0, v[14:17]
	buffer_store_dword v0, off, s[28:31], 0 offset:444 ; 4-byte Folded Spill
	ds_write_b128 v0, v[100:103] offset:128
	v_lshlrev_b32_e32 v0, 5, v53
	s_waitcnt lgkmcnt(0)
	s_waitcnt_vscnt null, 0x0
	s_barrier
	buffer_gl0_inv
	s_clause 0x1
	global_load_dwordx4 v[88:91], v0, s[14:15] offset:224
	global_load_dwordx4 v[92:95], v0, s[14:15] offset:240
	ds_read_b128 v[2:5], v128 offset:5376
	ds_read_b128 v[6:9], v128 offset:6272
	;; [unrolled: 1-line block ×4, first 2 shown]
	s_waitcnt vmcnt(1) lgkmcnt(3)
	v_mul_f64 v[0:1], v[4:5], v[90:91]
	v_fma_f64 v[0:1], v[2:3], v[88:89], -v[0:1]
	v_mul_f64 v[2:3], v[2:3], v[90:91]
	v_fma_f64 v[2:3], v[4:5], v[88:89], v[2:3]
	s_waitcnt vmcnt(0) lgkmcnt(1)
	v_mul_f64 v[4:5], v[16:17], v[94:95]
	v_fma_f64 v[12:13], v[14:15], v[92:93], -v[4:5]
	v_mul_f64 v[4:5], v[14:15], v[94:95]
	v_fma_f64 v[16:17], v[16:17], v[92:93], v[4:5]
	v_lshlrev_b32_e32 v4, 5, v55
	s_clause 0x1
	global_load_dwordx2 v[10:11], v4, s[14:15] offset:224
	global_load_dwordx4 v[65:68], v36, s[14:15] offset:224
	s_waitcnt vmcnt(0)
	v_mul_f64 v[4:5], v[8:9], v[67:68]
	v_fma_f64 v[4:5], v[6:7], v[10:11], -v[4:5]
	buffer_store_dword v10, off, s[28:31], 0 offset:336 ; 4-byte Folded Spill
	buffer_store_dword v11, off, s[28:31], 0 offset:340 ; 4-byte Folded Spill
	s_clause 0x1
	global_load_dwordx4 v[96:99], v36, s[14:15] offset:240
	global_load_dwordx4 v[84:87], v36, s[14:15] offset:232
	v_mul_f64 v[6:7], v[6:7], v[67:68]
	v_fma_f64 v[8:9], v[8:9], v[10:11], v[6:7]
	s_waitcnt vmcnt(1) lgkmcnt(0)
	v_mul_f64 v[6:7], v[20:21], v[98:99]
	s_waitcnt vmcnt(0)
	v_fma_f64 v[14:15], v[18:19], v[86:87], -v[6:7]
	v_mul_f64 v[6:7], v[18:19], v[98:99]
	v_fma_f64 v[18:19], v[20:21], v[86:87], v[6:7]
	ds_read_b128 v[20:23], v128 offset:7168
	ds_read_b128 v[24:27], v128 offset:8064
	;; [unrolled: 1-line block ×4, first 2 shown]
	s_waitcnt lgkmcnt(3)
	v_mul_f64 v[10:11], v[20:21], v[90:91]
	v_mul_f64 v[6:7], v[22:23], v[90:91]
	v_fma_f64 v[10:11], v[22:23], v[88:89], v[10:11]
	s_waitcnt lgkmcnt(1)
	v_mul_f64 v[22:23], v[28:29], v[94:95]
	v_fma_f64 v[6:7], v[20:21], v[88:89], -v[6:7]
	v_mul_f64 v[20:21], v[30:31], v[94:95]
	v_fma_f64 v[22:23], v[30:31], v[92:93], v[22:23]
	v_lshlrev_b32_e32 v30, 5, v56
	s_clause 0x1
	global_load_dwordx2 v[46:47], v36, s[14:15] offset:248
	global_load_dwordx4 v[40:43], v30, s[14:15] offset:224
	v_fma_f64 v[20:21], v[28:29], v[92:93], -v[20:21]
	s_waitcnt vmcnt(0)
	v_mul_f64 v[28:29], v[26:27], v[42:43]
	v_fma_f64 v[38:39], v[24:25], v[40:41], -v[28:29]
	v_mul_f64 v[24:25], v[24:25], v[42:43]
	buffer_store_dword v40, off, s[28:31], 0 offset:532 ; 4-byte Folded Spill
	buffer_store_dword v41, off, s[28:31], 0 offset:536 ; 4-byte Folded Spill
	;; [unrolled: 1-line block ×4, first 2 shown]
	v_fma_f64 v[40:41], v[26:27], v[40:41], v[24:25]
	global_load_dwordx4 v[26:29], v30, s[14:15] offset:240
	s_waitcnt vmcnt(0) lgkmcnt(0)
	v_mul_f64 v[24:25], v[34:35], v[28:29]
	v_fma_f64 v[42:43], v[32:33], v[26:27], -v[24:25]
	v_mul_f64 v[24:25], v[32:33], v[28:29]
	buffer_store_dword v26, off, s[28:31], 0 offset:512 ; 4-byte Folded Spill
	buffer_store_dword v27, off, s[28:31], 0 offset:516 ; 4-byte Folded Spill
	;; [unrolled: 1-line block ×4, first 2 shown]
	ds_read_b128 v[28:31], v128 offset:8960
	ds_read_b128 v[57:60], v128 offset:9856
	v_fma_f64 v[44:45], v[34:35], v[26:27], v[24:25]
	s_waitcnt lgkmcnt(1)
	v_mul_f64 v[24:25], v[30:31], v[90:91]
	v_fma_f64 v[26:27], v[28:29], v[88:89], -v[24:25]
	v_mul_f64 v[24:25], v[28:29], v[90:91]
	v_fma_f64 v[32:33], v[30:31], v[88:89], v[24:25]
	ds_read_b128 v[28:31], v128 offset:14336
	ds_read_b128 v[61:64], v128 offset:15232
	s_waitcnt lgkmcnt(1)
	v_mul_f64 v[24:25], v[30:31], v[94:95]
	v_fma_f64 v[34:35], v[28:29], v[92:93], -v[24:25]
	v_mul_f64 v[24:25], v[28:29], v[94:95]
	v_add_f64 v[120:121], v[26:27], v[34:35]
	v_fma_f64 v[36:37], v[30:31], v[92:93], v[24:25]
	v_mul_f64 v[24:25], v[59:60], v[84:85]
	buffer_store_dword v84, off, s[28:31], 0 offset:404 ; 4-byte Folded Spill
	buffer_store_dword v85, off, s[28:31], 0 offset:408 ; 4-byte Folded Spill
	;; [unrolled: 1-line block ×4, first 2 shown]
	v_add_f64 v[122:123], v[32:33], v[36:37]
	v_fma_f64 v[24:25], v[57:58], v[65:66], -v[24:25]
	buffer_store_dword v65, off, s[28:31], 0 offset:344 ; 4-byte Folded Spill
	buffer_store_dword v66, off, s[28:31], 0 offset:348 ; 4-byte Folded Spill
	;; [unrolled: 1-line block ×4, first 2 shown]
	v_add_f64 v[67:68], v[2:3], v[16:17]
	v_add_f64 v[124:125], v[32:33], -v[36:37]
	v_mul_f64 v[28:29], v[57:58], v[84:85]
	v_fma_f64 v[30:31], v[59:60], v[65:66], v[28:29]
	s_waitcnt lgkmcnt(0)
	v_mul_f64 v[28:29], v[63:64], v[46:47]
	buffer_store_dword v46, off, s[28:31], 0 offset:488 ; 4-byte Folded Spill
	buffer_store_dword v47, off, s[28:31], 0 offset:492 ; 4-byte Folded Spill
	v_add_f64 v[65:66], v[0:1], v[12:13]
	v_fma_f64 v[28:29], v[61:62], v[96:97], -v[28:29]
	buffer_store_dword v96, off, s[28:31], 0 offset:424 ; 4-byte Folded Spill
	buffer_store_dword v97, off, s[28:31], 0 offset:428 ; 4-byte Folded Spill
	;; [unrolled: 1-line block ×4, first 2 shown]
	v_mul_f64 v[46:47], v[61:62], v[46:47]
	v_fma_f64 v[46:47], v[63:64], v[96:97], v[46:47]
	ds_read_b128 v[57:60], v128
	ds_read_b128 v[61:64], v128 offset:896
	s_waitcnt lgkmcnt(1)
	v_fma_f64 v[65:66], v[65:66], -0.5, v[57:58]
	v_add_f64 v[57:58], v[57:58], v[0:1]
	v_fma_f64 v[67:68], v[67:68], -0.5, v[59:60]
	v_add_f64 v[59:60], v[59:60], v[2:3]
	v_add_f64 v[2:3], v[2:3], -v[16:17]
	v_add_f64 v[57:58], v[57:58], v[12:13]
	v_add_f64 v[12:13], v[0:1], -v[12:13]
	v_add_f64 v[59:60], v[59:60], v[16:17]
	v_fma_f64 v[0:1], v[2:3], s[0:1], v[65:66]
	v_fma_f64 v[65:66], v[2:3], s[2:3], v[65:66]
	s_waitcnt lgkmcnt(0)
	v_add_f64 v[16:17], v[61:62], v[4:5]
	v_fma_f64 v[2:3], v[12:13], s[2:3], v[67:68]
	v_fma_f64 v[67:68], v[12:13], s[0:1], v[67:68]
	v_add_f64 v[12:13], v[4:5], v[14:15]
	v_add_f64 v[4:5], v[4:5], -v[14:15]
	v_add_f64 v[16:17], v[16:17], v[14:15]
	v_fma_f64 v[84:85], v[12:13], -0.5, v[61:62]
	v_add_f64 v[12:13], v[8:9], v[18:19]
	v_fma_f64 v[86:87], v[12:13], -0.5, v[63:64]
	v_add_f64 v[12:13], v[63:64], v[8:9]
	v_add_f64 v[8:9], v[8:9], -v[18:19]
	v_fma_f64 v[14:15], v[4:5], s[2:3], v[86:87]
	v_fma_f64 v[63:64], v[4:5], s[0:1], v[86:87]
	v_add_f64 v[4:5], v[6:7], v[20:21]
	v_add_f64 v[18:19], v[12:13], v[18:19]
	v_fma_f64 v[12:13], v[8:9], s[0:1], v[84:85]
	v_fma_f64 v[61:62], v[8:9], s[2:3], v[84:85]
	ds_read_b128 v[84:87], v128 offset:1792
	ds_read_b128 v[112:115], v128 offset:2688
	s_waitcnt lgkmcnt(1)
	v_fma_f64 v[116:117], v[4:5], -0.5, v[84:85]
	v_add_f64 v[4:5], v[10:11], v[22:23]
	v_add_f64 v[8:9], v[84:85], v[6:7]
	v_add_f64 v[84:85], v[10:11], -v[22:23]
	v_fma_f64 v[118:119], v[4:5], -0.5, v[86:87]
	v_add_f64 v[4:5], v[86:87], v[10:11]
	v_add_f64 v[8:9], v[8:9], v[20:21]
	;; [unrolled: 1-line block ×3, first 2 shown]
	v_add_f64 v[22:23], v[6:7], -v[20:21]
	v_fma_f64 v[4:5], v[84:85], s[0:1], v[116:117]
	v_fma_f64 v[20:21], v[84:85], s[2:3], v[116:117]
	v_add_f64 v[84:85], v[38:39], v[42:43]
	v_fma_f64 v[6:7], v[22:23], s[2:3], v[118:119]
	v_fma_f64 v[22:23], v[22:23], s[0:1], v[118:119]
	s_waitcnt lgkmcnt(0)
	v_fma_f64 v[116:117], v[84:85], -0.5, v[112:113]
	v_add_f64 v[84:85], v[40:41], v[44:45]
	v_add_f64 v[112:113], v[112:113], v[38:39]
	v_fma_f64 v[118:119], v[84:85], -0.5, v[114:115]
	v_add_f64 v[84:85], v[114:115], v[40:41]
	v_add_f64 v[40:41], v[40:41], -v[44:45]
	v_add_f64 v[86:87], v[84:85], v[44:45]
	v_add_f64 v[44:45], v[38:39], -v[42:43]
	v_add_f64 v[84:85], v[112:113], v[42:43]
	v_fma_f64 v[38:39], v[40:41], s[0:1], v[116:117]
	v_fma_f64 v[42:43], v[40:41], s[2:3], v[116:117]
	;; [unrolled: 1-line block ×4, first 2 shown]
	ds_read_b128 v[112:115], v128 offset:3584
	ds_read_b128 v[116:119], v128 offset:4480
	s_waitcnt lgkmcnt(0)
	s_waitcnt_vscnt null, 0x0
	s_barrier
	buffer_gl0_inv
	v_fma_f64 v[122:123], v[122:123], -0.5, v[114:115]
	v_add_f64 v[114:115], v[114:115], v[32:33]
	v_fma_f64 v[120:121], v[120:121], -0.5, v[112:113]
	v_add_f64 v[112:113], v[112:113], v[26:27]
	v_add_f64 v[26:27], v[26:27], -v[34:35]
	v_add_f64 v[114:115], v[114:115], v[36:37]
	v_add_f64 v[36:37], v[30:31], v[46:47]
	;; [unrolled: 1-line block ×3, first 2 shown]
	v_fma_f64 v[34:35], v[26:27], s[2:3], v[122:123]
	v_fma_f64 v[122:123], v[26:27], s[0:1], v[122:123]
	v_add_f64 v[26:27], v[24:25], v[28:29]
	v_fma_f64 v[32:33], v[124:125], s[0:1], v[120:121]
	v_fma_f64 v[120:121], v[124:125], s[2:3], v[120:121]
	v_fma_f64 v[36:37], v[36:37], -0.5, v[118:119]
	v_add_f64 v[118:119], v[118:119], v[30:31]
	v_add_f64 v[30:31], v[30:31], -v[46:47]
	v_fma_f64 v[26:27], v[26:27], -0.5, v[116:117]
	v_add_f64 v[116:117], v[116:117], v[24:25]
	v_add_f64 v[118:119], v[118:119], v[46:47]
	v_add_f64 v[46:47], v[24:25], -v[28:29]
	v_fma_f64 v[24:25], v[30:31], s[0:1], v[26:27]
	v_add_f64 v[116:117], v[116:117], v[28:29]
	v_fma_f64 v[28:29], v[30:31], s[2:3], v[26:27]
	v_fma_f64 v[26:27], v[46:47], s[2:3], v[36:37]
	;; [unrolled: 1-line block ×3, first 2 shown]
	v_lshrrev_b32_e32 v36, 4, v129
	v_mul_u32_u24_e32 v36, 48, v36
	v_or_b32_e32 v36, v36, v53
	v_lshlrev_b32_e32 v36, 4, v36
	ds_write_b128 v36, v[57:60]
	ds_write_b128 v36, v[0:3] offset:256
	v_lshrrev_b32_e32 v0, 4, v52
	buffer_store_dword v36, off, s[28:31], 0 offset:584 ; 4-byte Folded Spill
	ds_write_b128 v36, v[65:68] offset:512
	v_mul_u32_u24_e32 v0, 48, v0
	v_or_b32_e32 v0, v0, v55
	v_lshlrev_b32_e32 v0, 4, v0
	ds_write_b128 v0, v[16:19]
	ds_write_b128 v0, v[12:15] offset:256
	buffer_store_dword v0, off, s[28:31], 0 offset:564 ; 4-byte Folded Spill
	ds_write_b128 v0, v[61:64] offset:512
	v_lshrrev_b32_e32 v0, 4, v70
	v_mul_u32_u24_e32 v0, 48, v0
	v_or_b32_e32 v0, v0, v53
	v_lshlrev_b32_e32 v0, 4, v0
	ds_write_b128 v0, v[8:11]
	ds_write_b128 v0, v[4:7] offset:256
	buffer_store_dword v0, off, s[28:31], 0 offset:560 ; 4-byte Folded Spill
	ds_write_b128 v0, v[20:23] offset:512
	v_lshrrev_b32_e32 v0, 4, v51
	;; [unrolled: 8-line block ×4, first 2 shown]
	v_mul_u32_u24_e32 v0, 48, v0
	v_or_b32_e32 v0, v0, v54
	v_lshlrev_b32_e32 v0, 4, v0
	ds_write_b128 v0, v[116:119]
	ds_write_b128 v0, v[24:27] offset:256
	buffer_store_dword v0, off, s[28:31], 0 offset:548 ; 4-byte Folded Spill
	ds_write_b128 v0, v[28:31] offset:512
	v_add_co_u32 v0, s6, 0xffffffd0, v129
	v_add_co_ci_u32_e64 v1, null, 0, -1, s6
	s_waitcnt lgkmcnt(0)
	s_waitcnt_vscnt null, 0x0
	v_cndmask_b32_e32 v0, v0, v129, vcc_lo
	s_barrier
	v_cndmask_b32_e64 v1, v1, 0, vcc_lo
	buffer_gl0_inv
	v_mov_b32_e32 v31, 0xaaab
	v_lshlrev_b64 v[1:2], 5, v[0:1]
	v_add_co_u32 v1, vcc_lo, s14, v1
	v_add_co_ci_u32_e32 v2, vcc_lo, s15, v2, vcc_lo
	s_clause 0x1
	global_load_dwordx4 v[112:115], v[1:2], off offset:736
	global_load_dwordx4 v[116:119], v[1:2], off offset:752
	ds_read_b128 v[1:4], v128 offset:5376
	ds_read_b128 v[5:8], v128 offset:6272
	v_cmp_lt_u16_e32 vcc_lo, 47, v48
	s_waitcnt vmcnt(1) lgkmcnt(1)
	v_mul_f64 v[9:10], v[3:4], v[114:115]
	v_fma_f64 v[13:14], v[1:2], v[112:113], -v[9:10]
	v_mul_f64 v[1:2], v[1:2], v[114:115]
	v_fma_f64 v[15:16], v[3:4], v[112:113], v[1:2]
	ds_read_b128 v[1:4], v128 offset:10752
	ds_read_b128 v[9:12], v128 offset:11648
	s_waitcnt vmcnt(0) lgkmcnt(1)
	v_mul_f64 v[17:18], v[3:4], v[118:119]
	v_fma_f64 v[17:18], v[1:2], v[116:117], -v[17:18]
	v_mul_f64 v[1:2], v[1:2], v[118:119]
	v_fma_f64 v[19:20], v[3:4], v[116:117], v[1:2]
	v_and_b32_e32 v1, 0xff, v52
	v_mul_lo_u16 v1, 0xab, v1
	v_lshrrev_b16 v47, 13, v1
	v_mul_lo_u16 v1, v47, 48
	v_sub_nc_u16 v1, v52, v1
	v_and_b32_e32 v69, 0xff, v1
	v_lshlrev_b32_e32 v1, 5, v69
	s_clause 0x1
	global_load_dwordx4 v[124:127], v1, s[14:15] offset:736
	global_load_dwordx4 v[120:123], v1, s[14:15] offset:752
	s_waitcnt vmcnt(1)
	v_mul_f64 v[1:2], v[7:8], v[126:127]
	v_fma_f64 v[21:22], v[5:6], v[124:125], -v[1:2]
	v_mul_f64 v[1:2], v[5:6], v[126:127]
	v_fma_f64 v[23:24], v[7:8], v[124:125], v[1:2]
	s_waitcnt vmcnt(0) lgkmcnt(0)
	v_mul_f64 v[1:2], v[11:12], v[122:123]
	v_fma_f64 v[25:26], v[9:10], v[120:121], -v[1:2]
	v_mul_f64 v[1:2], v[9:10], v[122:123]
	v_fma_f64 v[27:28], v[11:12], v[120:121], v[1:2]
	v_and_b32_e32 v1, 0xff, v70
	v_mul_lo_u16 v1, 0xab, v1
	v_lshrrev_b16 v71, 13, v1
	v_mul_lo_u16 v1, v71, 48
	v_sub_nc_u16 v1, v70, v1
	v_and_b32_e32 v96, 0xff, v1
	v_lshlrev_b32_e32 v1, 5, v96
	s_clause 0x1
	global_load_dwordx4 v[84:87], v1, s[14:15] offset:736
	global_load_dwordx4 v[132:135], v1, s[14:15] offset:752
	ds_read_b128 v[1:4], v128 offset:7168
	ds_read_b128 v[5:8], v128 offset:8064
	s_waitcnt vmcnt(1) lgkmcnt(1)
	v_mul_f64 v[9:10], v[3:4], v[86:87]
	v_fma_f64 v[33:34], v[1:2], v[84:85], -v[9:10]
	v_mul_f64 v[1:2], v[1:2], v[86:87]
	v_fma_f64 v[35:36], v[3:4], v[84:85], v[1:2]
	ds_read_b128 v[1:4], v128 offset:12544
	ds_read_b128 v[9:12], v128 offset:13440
	s_waitcnt vmcnt(0) lgkmcnt(1)
	v_mul_f64 v[29:30], v[3:4], v[134:135]
	v_fma_f64 v[37:38], v[1:2], v[132:133], -v[29:30]
	v_mul_f64 v[1:2], v[1:2], v[134:135]
	v_fma_f64 v[39:40], v[3:4], v[132:133], v[1:2]
	v_and_b32_e32 v1, 0xff, v51
	v_mul_lo_u16 v1, 0xab, v1
	v_lshrrev_b16 v97, 13, v1
	v_mul_lo_u16 v1, v97, 48
	v_sub_nc_u16 v1, v51, v1
	v_add_f64 v[53:54], v[35:36], v[39:40]
	v_and_b32_e32 v98, 0xff, v1
	v_lshlrev_b32_e32 v1, 5, v98
	s_clause 0x1
	global_load_dwordx4 v[140:143], v1, s[14:15] offset:736
	global_load_dwordx4 v[136:139], v1, s[14:15] offset:752
	s_waitcnt vmcnt(1)
	v_mul_f64 v[1:2], v[7:8], v[142:143]
	v_fma_f64 v[41:42], v[5:6], v[140:141], -v[1:2]
	v_mul_f64 v[1:2], v[5:6], v[142:143]
	v_fma_f64 v[43:44], v[7:8], v[140:141], v[1:2]
	s_waitcnt vmcnt(0) lgkmcnt(0)
	v_mul_f64 v[1:2], v[11:12], v[138:139]
	v_fma_f64 v[45:46], v[9:10], v[136:137], -v[1:2]
	v_mul_f64 v[1:2], v[9:10], v[138:139]
	v_fma_f64 v[51:52], v[11:12], v[136:137], v[1:2]
	v_mul_u32_u24_sdwa v1, v50, v31 dst_sel:DWORD dst_unused:UNUSED_PAD src0_sel:WORD_0 src1_sel:DWORD
	v_lshrrev_b32_e32 v99, 21, v1
	v_mul_lo_u16 v1, v99, 48
	v_sub_nc_u16 v100, v50, v1
	v_lshlrev_b16 v1, 5, v100
	v_and_b32_e32 v1, 0xffff, v1
	v_add_co_u32 v1, s6, s14, v1
	v_add_co_ci_u32_e64 v2, null, s15, 0, s6
	s_clause 0x1
	global_load_dwordx4 v[144:147], v[1:2], off offset:736
	global_load_dwordx4 v[148:151], v[1:2], off offset:752
	ds_read_b128 v[1:4], v128 offset:8960
	ds_read_b128 v[5:8], v128 offset:9856
	s_waitcnt vmcnt(1) lgkmcnt(1)
	v_mul_f64 v[9:10], v[3:4], v[146:147]
	v_fma_f64 v[61:62], v[1:2], v[144:145], -v[9:10]
	v_mul_f64 v[1:2], v[1:2], v[146:147]
	v_fma_f64 v[63:64], v[3:4], v[144:145], v[1:2]
	ds_read_b128 v[1:4], v128 offset:14336
	ds_read_b128 v[9:12], v128 offset:15232
	s_waitcnt vmcnt(0) lgkmcnt(1)
	v_mul_f64 v[29:30], v[3:4], v[150:151]
	v_fma_f64 v[65:66], v[1:2], v[148:149], -v[29:30]
	v_mul_f64 v[1:2], v[1:2], v[150:151]
	v_fma_f64 v[67:68], v[3:4], v[148:149], v[1:2]
	v_mul_u32_u24_sdwa v1, v49, v31 dst_sel:DWORD dst_unused:UNUSED_PAD src0_sel:WORD_0 src1_sel:DWORD
	v_lshrrev_b32_e32 v101, 21, v1
	v_mul_lo_u16 v1, v101, 48
	v_sub_nc_u16 v102, v49, v1
	v_add_f64 v[49:50], v[33:34], v[37:38]
	v_lshlrev_b16 v1, 5, v102
	v_add_f64 v[166:167], v[63:64], v[67:68]
	v_and_b32_e32 v1, 0xffff, v1
	v_add_co_u32 v1, s6, s14, v1
	v_add_co_ci_u32_e64 v2, null, s15, 0, s6
	s_clause 0x1
	global_load_dwordx4 v[156:159], v[1:2], off offset:736
	global_load_dwordx4 v[152:155], v[1:2], off offset:752
	s_waitcnt vmcnt(1)
	v_mul_f64 v[1:2], v[7:8], v[158:159]
	v_fma_f64 v[130:131], v[5:6], v[156:157], -v[1:2]
	v_mul_f64 v[1:2], v[5:6], v[158:159]
	v_fma_f64 v[160:161], v[7:8], v[156:157], v[1:2]
	s_waitcnt vmcnt(0) lgkmcnt(0)
	v_mul_f64 v[1:2], v[11:12], v[154:155]
	v_fma_f64 v[162:163], v[9:10], v[152:153], -v[1:2]
	v_mul_f64 v[1:2], v[9:10], v[154:155]
	v_add_f64 v[9:10], v[13:14], v[17:18]
	v_fma_f64 v[164:165], v[11:12], v[152:153], v[1:2]
	ds_read_b128 v[1:4], v128
	ds_read_b128 v[5:8], v128 offset:896
	s_waitcnt lgkmcnt(1)
	v_fma_f64 v[11:12], v[9:10], -0.5, v[1:2]
	v_add_f64 v[9:10], v[15:16], v[19:20]
	v_add_f64 v[1:2], v[1:2], v[13:14]
	v_fma_f64 v[29:30], v[9:10], -0.5, v[3:4]
	v_add_f64 v[3:4], v[3:4], v[15:16]
	v_add_f64 v[15:16], v[15:16], -v[19:20]
	v_add_f64 v[1:2], v[1:2], v[17:18]
	v_add_f64 v[17:18], v[13:14], -v[17:18]
	v_add_f64 v[3:4], v[3:4], v[19:20]
	v_fma_f64 v[9:10], v[15:16], s[0:1], v[11:12]
	v_fma_f64 v[13:14], v[15:16], s[2:3], v[11:12]
	;; [unrolled: 1-line block ×4, first 2 shown]
	v_add_f64 v[17:18], v[21:22], v[25:26]
	s_waitcnt lgkmcnt(0)
	v_fma_f64 v[19:20], v[17:18], -0.5, v[5:6]
	v_add_f64 v[17:18], v[23:24], v[27:28]
	v_add_f64 v[5:6], v[5:6], v[21:22]
	v_fma_f64 v[29:30], v[17:18], -0.5, v[7:8]
	v_add_f64 v[7:8], v[7:8], v[23:24]
	v_add_f64 v[23:24], v[23:24], -v[27:28]
	v_add_f64 v[5:6], v[5:6], v[25:26]
	v_add_f64 v[25:26], v[21:22], -v[25:26]
	v_add_f64 v[7:8], v[7:8], v[27:28]
	v_fma_f64 v[17:18], v[23:24], s[0:1], v[19:20]
	v_fma_f64 v[21:22], v[23:24], s[2:3], v[19:20]
	v_fma_f64 v[19:20], v[25:26], s[2:3], v[29:30]
	v_fma_f64 v[23:24], v[25:26], s[0:1], v[29:30]
	ds_read_b128 v[25:28], v128 offset:1792
	ds_read_b128 v[29:32], v128 offset:2688
	s_waitcnt lgkmcnt(1)
	v_fma_f64 v[49:50], v[49:50], -0.5, v[25:26]
	v_fma_f64 v[53:54], v[53:54], -0.5, v[27:28]
	v_add_f64 v[27:28], v[27:28], v[35:36]
	v_add_f64 v[25:26], v[25:26], v[33:34]
	v_add_f64 v[35:36], v[35:36], -v[39:40]
	v_add_f64 v[27:28], v[27:28], v[39:40]
	v_add_f64 v[25:26], v[25:26], v[37:38]
	v_add_f64 v[39:40], v[33:34], -v[37:38]
	v_fma_f64 v[33:34], v[35:36], s[0:1], v[49:50]
	v_fma_f64 v[37:38], v[35:36], s[2:3], v[49:50]
	v_add_f64 v[49:50], v[41:42], v[45:46]
	v_fma_f64 v[35:36], v[39:40], s[2:3], v[53:54]
	v_fma_f64 v[39:40], v[39:40], s[0:1], v[53:54]
	v_add_f64 v[53:54], v[43:44], v[51:52]
	s_waitcnt lgkmcnt(0)
	v_fma_f64 v[49:50], v[49:50], -0.5, v[29:30]
	v_add_f64 v[29:30], v[29:30], v[41:42]
	v_fma_f64 v[53:54], v[53:54], -0.5, v[31:32]
	v_add_f64 v[31:32], v[31:32], v[43:44]
	v_add_f64 v[43:44], v[43:44], -v[51:52]
	v_add_f64 v[29:30], v[29:30], v[45:46]
	v_add_f64 v[45:46], v[41:42], -v[45:46]
	v_add_f64 v[31:32], v[31:32], v[51:52]
	v_fma_f64 v[41:42], v[43:44], s[0:1], v[49:50]
	v_fma_f64 v[49:50], v[43:44], s[2:3], v[49:50]
	;; [unrolled: 1-line block ×4, first 2 shown]
	v_add_f64 v[45:46], v[61:62], v[65:66]
	ds_read_b128 v[53:56], v128 offset:3584
	ds_read_b128 v[57:60], v128 offset:4480
	s_waitcnt lgkmcnt(0)
	s_barrier
	buffer_gl0_inv
	v_fma_f64 v[166:167], v[166:167], -0.5, v[55:56]
	v_add_f64 v[55:56], v[55:56], v[63:64]
	v_fma_f64 v[45:46], v[45:46], -0.5, v[53:54]
	v_add_f64 v[53:54], v[53:54], v[61:62]
	v_add_f64 v[63:64], v[63:64], -v[67:68]
	v_add_f64 v[55:56], v[55:56], v[67:68]
	v_add_f64 v[67:68], v[160:161], -v[164:165]
	;; [unrolled: 2-line block ×3, first 2 shown]
	v_fma_f64 v[61:62], v[63:64], s[0:1], v[45:46]
	v_fma_f64 v[232:233], v[63:64], s[2:3], v[45:46]
	v_add_f64 v[45:46], v[130:131], v[162:163]
	v_fma_f64 v[63:64], v[65:66], s[2:3], v[166:167]
	v_fma_f64 v[234:235], v[65:66], s[0:1], v[166:167]
	v_add_f64 v[65:66], v[160:161], v[164:165]
	v_fma_f64 v[45:46], v[45:46], -0.5, v[57:58]
	v_add_f64 v[57:58], v[57:58], v[130:131]
	v_fma_f64 v[65:66], v[65:66], -0.5, v[59:60]
	v_fma_f64 v[180:181], v[67:68], s[0:1], v[45:46]
	v_fma_f64 v[184:185], v[67:68], s[2:3], v[45:46]
	v_cndmask_b32_e64 v45, 0, 0x90, vcc_lo
	v_add_f64 v[172:173], v[57:58], v[162:163]
	v_add_f64 v[57:58], v[130:131], -v[162:163]
	v_add_f64 v[59:60], v[59:60], v[160:161]
	v_cmp_gt_u16_e32 vcc_lo, 32, v48
	v_add_lshl_u32 v0, v0, v45, 4
	ds_write_b128 v0, v[1:4]
	ds_write_b128 v0, v[9:12] offset:768
	buffer_store_dword v0, off, s[28:31], 0 offset:568 ; 4-byte Folded Spill
	ds_write_b128 v0, v[13:16] offset:1536
	v_mov_b32_e32 v0, 0x90
	v_mul_u32_u24_sdwa v1, v47, v0 dst_sel:DWORD dst_unused:UNUSED_PAD src0_sel:WORD_0 src1_sel:DWORD
	v_add_lshl_u32 v1, v1, v69, 4
	ds_write_b128 v1, v[5:8]
	ds_write_b128 v1, v[17:20] offset:768
	buffer_store_dword v1, off, s[28:31], 0 offset:572 ; 4-byte Folded Spill
	ds_write_b128 v1, v[21:24] offset:1536
	v_mul_u32_u24_sdwa v1, v71, v0 dst_sel:DWORD dst_unused:UNUSED_PAD src0_sel:WORD_0 src1_sel:DWORD
	v_mul_u32_u24_sdwa v0, v97, v0 dst_sel:DWORD dst_unused:UNUSED_PAD src0_sel:WORD_0 src1_sel:DWORD
	v_fma_f64 v[186:187], v[57:58], s[0:1], v[65:66]
	v_add_f64 v[174:175], v[59:60], v[164:165]
	v_fma_f64 v[182:183], v[57:58], s[2:3], v[65:66]
	v_add_lshl_u32 v1, v1, v96, 4
	v_add_lshl_u32 v0, v0, v98, 4
	ds_write_b128 v1, v[25:28]
	ds_write_b128 v1, v[33:36] offset:768
	buffer_store_dword v1, off, s[28:31], 0 offset:576 ; 4-byte Folded Spill
	ds_write_b128 v1, v[37:40] offset:1536
	ds_write_b128 v0, v[29:32]
	ds_write_b128 v0, v[41:44] offset:768
	buffer_store_dword v0, off, s[28:31], 0 offset:580 ; 4-byte Folded Spill
	ds_write_b128 v0, v[49:52] offset:1536
	v_mad_u16 v0, 0x90, v99, v100
	v_mov_b32_e32 v1, 4
	s_load_dwordx2 s[2:3], s[4:5], 0x38
	v_lshlrev_b32_sdwa v3, v1, v0 dst_sel:DWORD dst_unused:UNUSED_PAD src0_sel:DWORD src1_sel:WORD_0
	v_mad_u16 v0, 0x90, v101, v102
	ds_write_b128 v3, v[53:56]
	ds_write_b128 v3, v[61:64] offset:768
	v_lshlrev_b32_sdwa v2, v1, v0 dst_sel:DWORD dst_unused:UNUSED_PAD src0_sel:DWORD src1_sel:WORD_0
	buffer_store_dword v3, off, s[28:31], 0 offset:592 ; 4-byte Folded Spill
	ds_write_b128 v3, v[232:235] offset:1536
	ds_write_b128 v2, v[172:175]
	ds_write_b128 v2, v[180:183] offset:768
	buffer_store_dword v2, off, s[28:31], 0 offset:588 ; 4-byte Folded Spill
	ds_write_b128 v2, v[184:187] offset:1536
	s_waitcnt lgkmcnt(0)
	s_waitcnt_vscnt null, 0x0
	s_barrier
	buffer_gl0_inv
	ds_read_b128 v[240:243], v128
	ds_read_b128 v[236:239], v128 offset:896
	ds_read_b128 v[12:15], v128 offset:2304
	;; [unrolled: 1-line block ×13, first 2 shown]
	s_and_saveexec_b32 s0, vcc_lo
	s_cbranch_execz .LBB0_3
; %bb.2:
	ds_read_b128 v[232:235], v128 offset:1792
	ds_read_b128 v[172:175], v128 offset:4096
	ds_read_b128 v[180:183], v128 offset:6400
	ds_read_b128 v[184:187], v128 offset:8704
	ds_read_b128 v[244:247], v128 offset:11008
	ds_read_b128 v[248:251], v128 offset:13312
	ds_read_b128 v[252:255], v128 offset:15616
.LBB0_3:
	s_or_b32 exec_lo, exec_lo, s0
	v_mad_u64_u32 v[16:17], null, 0x60, v129, s[14:15]
	s_mov_b32 s18, 0xe976ee23
	s_mov_b32 s19, 0xbfe11646
	;; [unrolled: 1-line block ×6, first 2 shown]
	v_add_co_u32 v18, s0, 0x800, v16
	v_add_co_ci_u32_e64 v19, s0, 0, v17, s0
	v_add_co_u32 v20, s0, 0x8e0, v16
	v_add_co_ci_u32_e64 v21, s0, 0, v17, s0
	global_load_dwordx4 v[160:163], v[18:19], off offset:224
	s_mov_b32 s4, 0x37c3f68c
	s_clause 0x3
	global_load_dwordx4 v[220:223], v[20:21], off offset:16
	global_load_dwordx4 v[192:195], v[20:21], off offset:32
	global_load_dwordx4 v[196:199], v[20:21], off offset:48
	global_load_dwordx4 v[224:227], v[18:19], off offset:288
	v_add_co_u32 v18, s0, 0x920, v16
	v_add_co_ci_u32_e64 v19, s0, 0, v17, s0
	v_add_co_u32 v20, s0, 0x1800, v16
	v_add_co_ci_u32_e64 v21, s0, 0, v17, s0
	global_load_dwordx4 v[228:231], v[18:19], off offset:16
	s_mov_b32 s5, 0x3fdc38aa
	s_mov_b32 s20, 0x37e14327
	global_load_dwordx4 v[188:191], v[20:21], off offset:1504
	s_mov_b32 s21, 0x3fe948f6
	s_mov_b32 s24, 0xb247c609
	;; [unrolled: 1-line block ×6, first 2 shown]
	s_waitcnt vmcnt(6) lgkmcnt(11)
	v_mul_f64 v[18:19], v[14:15], v[162:163]
	v_mul_f64 v[22:23], v[12:13], v[162:163]
	v_fma_f64 v[48:49], v[12:13], v[160:161], -v[18:19]
	s_waitcnt vmcnt(5) lgkmcnt(9)
	v_mul_f64 v[12:13], v[10:11], v[222:223]
	v_fma_f64 v[46:47], v[14:15], v[160:161], v[22:23]
	v_mul_f64 v[14:15], v[8:9], v[222:223]
	v_fma_f64 v[52:53], v[8:9], v[220:221], -v[12:13]
	s_waitcnt vmcnt(4) lgkmcnt(7)
	v_mul_f64 v[8:9], v[6:7], v[194:195]
	v_fma_f64 v[50:51], v[10:11], v[220:221], v[14:15]
	;; [unrolled: 5-line block ×5, first 2 shown]
	v_mul_f64 v[2:3], v[200:201], v[230:231]
	v_fma_f64 v[68:69], v[200:201], v[228:229], -v[0:1]
	v_add_co_u32 v0, s0, 0x1de0, v16
	v_add_co_ci_u32_e64 v1, s0, 0, v17, s0
	v_fma_f64 v[66:67], v[202:203], v[228:229], v[2:3]
	global_load_dwordx4 v[200:203], v[0:1], off offset:48
	s_waitcnt vmcnt(1)
	v_mul_f64 v[2:3], v[206:207], v[190:191]
	v_fma_f64 v[26:27], v[204:205], v[188:189], -v[2:3]
	v_mul_f64 v[2:3], v[204:205], v[190:191]
	v_fma_f64 v[24:25], v[206:207], v[188:189], v[2:3]
	s_clause 0x1
	global_load_dwordx4 v[208:211], v[0:1], off offset:16
	global_load_dwordx4 v[204:207], v[0:1], off offset:32
	s_waitcnt vmcnt(1)
	v_mul_f64 v[0:1], v[218:219], v[210:211]
	v_fma_f64 v[28:29], v[216:217], v[208:209], -v[0:1]
	v_mul_f64 v[0:1], v[216:217], v[210:211]
	v_fma_f64 v[18:19], v[218:219], v[208:209], v[0:1]
	s_waitcnt vmcnt(0)
	v_mul_f64 v[0:1], v[214:215], v[206:207]
	v_fma_f64 v[32:33], v[212:213], v[204:205], -v[0:1]
	v_mul_f64 v[0:1], v[212:213], v[206:207]
	v_fma_f64 v[30:31], v[214:215], v[204:205], v[0:1]
	v_mul_f64 v[0:1], v[178:179], v[202:203]
	v_fma_f64 v[36:37], v[176:177], v[200:201], -v[0:1]
	v_mul_f64 v[0:1], v[176:177], v[202:203]
	v_fma_f64 v[34:35], v[178:179], v[200:201], v[0:1]
	v_add_co_u32 v0, s0, 0x1e20, v16
	v_add_co_ci_u32_e64 v1, s0, 0, v17, s0
	s_clause 0x1
	global_load_dwordx4 v[212:215], v[20:21], off offset:1568
	global_load_dwordx4 v[216:219], v[0:1], off offset:16
	s_waitcnt vmcnt(1)
	v_mul_f64 v[0:1], v[170:171], v[214:215]
	v_fma_f64 v[40:41], v[168:169], v[212:213], -v[0:1]
	v_mul_f64 v[0:1], v[168:169], v[214:215]
	v_add_f64 v[168:169], v[50:51], v[62:63]
	v_fma_f64 v[38:39], v[170:171], v[212:213], v[0:1]
	s_waitcnt vmcnt(0) lgkmcnt(0)
	v_mul_f64 v[0:1], v[166:167], v[218:219]
	v_add_f64 v[170:171], v[54:55], v[58:59]
	v_add_f64 v[54:55], v[58:59], -v[54:55]
	v_add_f64 v[58:59], v[46:47], -v[66:67]
	v_fma_f64 v[44:45], v[164:165], v[216:217], -v[0:1]
	v_mul_f64 v[0:1], v[164:165], v[218:219]
	v_add_f64 v[130:131], v[26:27], v[44:45]
	v_fma_f64 v[42:43], v[166:167], v[216:217], v[0:1]
	v_subrev_nc_u32_e32 v0, 32, v129
	v_add_f64 v[166:167], v[46:47], v[66:67]
	v_add_f64 v[26:27], v[26:27], -v[44:45]
	v_cndmask_b32_e32 v0, v0, v70, vcc_lo
	v_add_f64 v[70:71], v[48:49], v[68:69]
	v_mul_i32_i24_e32 v1, 0x60, v0
	v_mul_hi_i32_i24_e32 v0, 0x60, v0
	v_add_co_u32 v20, s0, s14, v1
	v_add_co_ci_u32_e64 v21, s0, s15, v0, s0
	s_mov_b32 s14, 0x5476071b
	v_add_co_u32 v0, s0, 0x800, v20
	v_add_co_ci_u32_e64 v1, s0, 0, v21, s0
	v_add_co_u32 v2, s0, 0x8e0, v20
	v_add_co_ci_u32_e64 v3, s0, 0, v21, s0
	s_clause 0x1
	global_load_dwordx4 v[8:11], v[0:1], off offset:224
	global_load_dwordx4 v[96:99], v[2:3], off offset:48
	v_add_f64 v[178:179], v[24:25], v[42:43]
	v_add_f64 v[66:67], v[168:169], -v[166:167]
	s_mov_b32 s15, 0x3fe77f67
	s_mov_b32 s22, s14
	v_add_f64 v[24:25], v[24:25], -v[42:43]
	s_waitcnt vmcnt(1)
	v_mul_f64 v[4:5], v[174:175], v[10:11]
	v_mul_f64 v[6:7], v[172:173], v[10:11]
	v_fma_f64 v[4:5], v[172:173], v[8:9], -v[4:5]
	buffer_store_dword v8, off, s[28:31], 0 offset:596 ; 4-byte Folded Spill
	buffer_store_dword v9, off, s[28:31], 0 offset:600 ; 4-byte Folded Spill
	;; [unrolled: 1-line block ×4, first 2 shown]
	s_clause 0x1
	global_load_dwordx4 v[12:15], v[2:3], off offset:16
	global_load_dwordx4 v[100:103], v[2:3], off offset:32
	v_add_f64 v[172:173], v[28:29], v[40:41]
	v_add_f64 v[28:29], v[28:29], -v[40:41]
	v_add_f64 v[40:41], v[172:173], -v[130:131]
	v_fma_f64 v[6:7], v[174:175], v[8:9], v[6:7]
	v_add_f64 v[174:175], v[32:33], v[36:37]
	v_add_f64 v[36:37], v[36:37], -v[32:33]
	s_waitcnt vmcnt(1)
	v_mul_f64 v[2:3], v[182:183], v[14:15]
	v_add_f64 v[44:45], v[174:175], -v[172:173]
	v_add_f64 v[32:33], v[36:37], -v[28:29]
	v_fma_f64 v[10:11], v[180:181], v[12:13], -v[2:3]
	v_mul_f64 v[2:3], v[180:181], v[14:15]
	buffer_store_dword v12, off, s[28:31], 0 offset:644 ; 4-byte Folded Spill
	buffer_store_dword v13, off, s[28:31], 0 offset:648 ; 4-byte Folded Spill
	;; [unrolled: 1-line block ×4, first 2 shown]
	v_add_f64 v[180:181], v[18:19], v[38:39]
	v_add_f64 v[18:19], v[18:19], -v[38:39]
	v_add_f64 v[38:39], v[34:35], -v[30:31]
	;; [unrolled: 1-line block ×3, first 2 shown]
	v_fma_f64 v[8:9], v[182:183], v[12:13], v[2:3]
	s_waitcnt vmcnt(0)
	v_mul_f64 v[2:3], v[186:187], v[102:103]
	v_add_f64 v[182:183], v[30:31], v[34:35]
	v_add_f64 v[30:31], v[36:37], v[28:29]
	v_add_f64 v[34:35], v[38:39], -v[18:19]
	v_fma_f64 v[14:15], v[184:185], v[100:101], -v[2:3]
	v_mul_f64 v[2:3], v[184:185], v[102:103]
	buffer_store_dword v100, off, s[28:31], 0 offset:628 ; 4-byte Folded Spill
	buffer_store_dword v101, off, s[28:31], 0 offset:632 ; 4-byte Folded Spill
	buffer_store_dword v102, off, s[28:31], 0 offset:636 ; 4-byte Folded Spill
	buffer_store_dword v103, off, s[28:31], 0 offset:640 ; 4-byte Folded Spill
	v_fma_f64 v[12:13], v[186:187], v[100:101], v[2:3]
	v_mul_f64 v[2:3], v[246:247], v[98:99]
	v_fma_f64 v[16:17], v[244:245], v[96:97], -v[2:3]
	v_mul_f64 v[2:3], v[244:245], v[98:99]
	buffer_store_dword v96, off, s[28:31], 0 offset:612 ; 4-byte Folded Spill
	buffer_store_dword v97, off, s[28:31], 0 offset:616 ; 4-byte Folded Spill
	;; [unrolled: 1-line block ×4, first 2 shown]
	v_fma_f64 v[244:245], v[246:247], v[96:97], v[2:3]
	v_add_co_u32 v2, s0, 0x920, v20
	v_add_co_ci_u32_e64 v3, s0, 0, v21, s0
	s_clause 0x1
	global_load_dwordx4 v[96:99], v[0:1], off offset:288
	global_load_dwordx4 v[100:103], v[2:3], off offset:16
	s_mov_b32 s0, 0xaaaaaaaa
	s_mov_b32 s1, 0xbff2aaaa
	v_add_f64 v[106:107], v[12:13], v[244:245]
	v_add_f64 v[12:13], v[244:245], -v[12:13]
	s_waitcnt vmcnt(1)
	v_mul_f64 v[0:1], v[250:251], v[98:99]
	v_fma_f64 v[20:21], v[248:249], v[96:97], -v[0:1]
	v_mul_f64 v[0:1], v[248:249], v[98:99]
	buffer_store_dword v96, off, s[28:31], 0 offset:660 ; 4-byte Folded Spill
	buffer_store_dword v97, off, s[28:31], 0 offset:664 ; 4-byte Folded Spill
	;; [unrolled: 1-line block ×4, first 2 shown]
	v_add_f64 v[98:99], v[14:15], v[16:17]
	v_add_f64 v[14:15], v[16:17], -v[14:15]
	v_fma_f64 v[246:247], v[250:251], v[96:97], v[0:1]
	s_waitcnt vmcnt(0)
	v_mul_f64 v[0:1], v[254:255], v[102:103]
	v_add_f64 v[250:251], v[56:57], v[60:61]
	v_add_f64 v[96:97], v[10:11], v[20:21]
	v_add_f64 v[56:57], v[60:61], -v[56:57]
	v_add_f64 v[60:61], v[48:49], -v[68:69]
	;; [unrolled: 1-line block ×5, first 2 shown]
	v_add_f64 v[104:105], v[8:9], v[246:247]
	v_fma_f64 v[22:23], v[252:253], v[100:101], -v[0:1]
	v_mul_f64 v[0:1], v[252:253], v[102:103]
	buffer_store_dword v100, off, s[28:31], 0 offset:676 ; 4-byte Folded Spill
	buffer_store_dword v101, off, s[28:31], 0 offset:680 ; 4-byte Folded Spill
	;; [unrolled: 1-line block ×4, first 2 shown]
	v_add_f64 v[252:253], v[52:53], v[64:65]
	v_add_f64 v[52:53], v[52:53], -v[64:65]
	v_add_f64 v[8:9], v[8:9], -v[246:247]
	;; [unrolled: 1-line block ×3, first 2 shown]
	v_add_f64 v[186:187], v[4:5], v[22:23]
	v_add_f64 v[4:5], v[4:5], -v[22:23]
	v_add_f64 v[64:65], v[250:251], -v[252:253]
	;; [unrolled: 1-line block ×3, first 2 shown]
	v_add_f64 v[46:47], v[56:57], v[52:53]
	v_add_f64 v[62:63], v[252:253], -v[70:71]
	v_add_f64 v[16:17], v[96:97], -v[186:187]
	v_fma_f64 v[248:249], v[254:255], v[100:101], v[0:1]
	v_add_f64 v[0:1], v[252:253], v[70:71]
	v_add_f64 v[70:71], v[70:71], -v[250:251]
	v_add_f64 v[102:103], v[6:7], v[248:249]
	v_add_f64 v[164:165], v[250:251], v[0:1]
	;; [unrolled: 1-line block ×3, first 2 shown]
	v_add_f64 v[168:169], v[52:53], -v[60:61]
	v_add_f64 v[52:53], v[54:55], v[48:49]
	v_add_f64 v[166:167], v[166:167], -v[170:171]
	v_mul_f64 v[70:71], v[70:71], s[20:21]
	v_add_f64 v[6:7], v[6:7], -v[248:249]
	v_add_f64 v[22:23], v[104:105], -v[102:103]
	v_add_f64 v[240:241], v[240:241], v[164:165]
	v_add_f64 v[254:255], v[170:171], v[0:1]
	;; [unrolled: 1-line block ×3, first 2 shown]
	v_add_f64 v[170:171], v[60:61], -v[56:57]
	v_mul_f64 v[166:167], v[166:167], s[20:21]
	v_add_f64 v[130:131], v[130:131], -v[174:175]
	v_fma_f64 v[110:111], v[164:165], s[0:1], v[240:241]
	v_add_f64 v[242:243], v[242:243], v[254:255]
	v_add_f64 v[176:177], v[174:175], v[0:1]
	;; [unrolled: 1-line block ×3, first 2 shown]
	ds_write_b128 v128, v[240:243]
	v_add_f64 v[236:237], v[236:237], v[176:177]
	v_add_f64 v[184:185], v[182:183], v[0:1]
	;; [unrolled: 1-line block ×3, first 2 shown]
	v_mul_f64 v[240:241], v[50:51], s[18:19]
	v_fma_f64 v[164:165], v[254:255], s[0:1], v[242:243]
	v_fma_f64 v[176:177], v[176:177], s[0:1], v[236:237]
	v_add_f64 v[238:239], v[238:239], v[184:185]
	v_add_f64 v[100:101], v[98:99], v[0:1]
	;; [unrolled: 1-line block ×3, first 2 shown]
	v_fma_f64 v[50:51], v[168:169], s[16:17], -v[240:241]
	ds_write_b128 v128, v[236:239] offset:896
	v_add_f64 v[236:237], v[46:47], v[60:61]
	v_add_f64 v[108:109], v[106:107], v[0:1]
	;; [unrolled: 1-line block ×3, first 2 shown]
	v_add_f64 v[232:233], v[54:55], -v[48:49]
	v_mul_f64 v[46:47], v[64:65], s[6:7]
	v_fma_f64 v[184:185], v[184:185], s[0:1], v[238:239]
	v_add_f64 v[238:239], v[52:53], v[58:59]
	v_fma_f64 v[60:61], v[66:67], s[22:23], -v[166:167]
	v_fma_f64 v[64:65], v[64:65], s[6:7], v[70:71]
	v_fma_f64 v[52:53], v[236:237], s[4:5], v[50:51]
	v_add_f64 v[2:3], v[234:235], v[108:109]
	v_add_f64 v[234:235], v[48:49], -v[58:59]
	v_mul_f64 v[232:233], v[232:233], s[18:19]
	v_fma_f64 v[46:47], v[62:63], s[14:15], -v[46:47]
	v_mul_f64 v[48:49], v[68:69], s[6:7]
	v_fma_f64 v[68:69], v[68:69], s[6:7], v[166:167]
	v_add_f64 v[60:61], v[60:61], v[164:165]
	v_mul_f64 v[56:57], v[234:235], s[16:17]
	v_fma_f64 v[50:51], v[234:235], s[16:17], -v[232:233]
	v_add_f64 v[242:243], v[46:47], v[110:111]
	v_fma_f64 v[48:49], v[66:67], s[14:15], -v[48:49]
	v_add_f64 v[68:69], v[68:69], v[164:165]
	v_fma_f64 v[50:51], v[238:239], s[4:5], v[50:51]
	v_add_f64 v[252:253], v[48:49], v[164:165]
	v_add_f64 v[164:165], v[30:31], v[26:27]
	v_add_f64 v[46:47], v[242:243], -v[50:51]
	v_add_f64 v[50:51], v[50:51], v[242:243]
	v_add_f64 v[242:243], v[58:59], -v[54:55]
	v_mul_f64 v[54:55], v[168:169], s[16:17]
	v_fma_f64 v[58:59], v[62:63], s[22:23], -v[70:71]
	v_mul_f64 v[168:169], v[32:33], s[18:19]
	v_add_f64 v[48:49], v[52:53], v[252:253]
	v_add_f64 v[52:53], v[252:253], -v[52:53]
	v_fma_f64 v[56:57], v[242:243], s[26:27], -v[56:57]
	v_fma_f64 v[54:55], v[170:171], s[26:27], -v[54:55]
	v_add_f64 v[58:59], v[58:59], v[110:111]
	v_add_f64 v[110:111], v[64:65], v[110:111]
	v_fma_f64 v[66:67], v[238:239], s[4:5], v[56:57]
	v_fma_f64 v[62:63], v[236:237], s[4:5], v[54:55]
	v_add_f64 v[54:55], v[66:67], v[58:59]
	v_add_f64 v[58:59], v[58:59], -v[66:67]
	v_fma_f64 v[66:67], v[242:243], s[24:25], v[232:233]
	v_add_f64 v[56:57], v[60:61], -v[62:63]
	v_add_f64 v[60:61], v[62:63], v[60:61]
	v_fma_f64 v[62:63], v[170:171], s[24:25], v[240:241]
	v_mul_f64 v[170:171], v[34:35], s[18:19]
	v_fma_f64 v[66:67], v[238:239], s[4:5], v[66:67]
	v_fma_f64 v[70:71], v[236:237], s[4:5], v[62:63]
	v_add_f64 v[62:63], v[66:67], v[110:111]
	v_add_f64 v[66:67], v[110:111], -v[66:67]
	v_add_f64 v[110:111], v[28:29], -v[26:27]
	v_add_f64 v[28:29], v[38:39], v[18:19]
	v_add_f64 v[18:19], v[18:19], -v[24:25]
	v_add_f64 v[26:27], v[26:27], -v[36:37]
	;; [unrolled: 1-line block ×3, first 2 shown]
	v_add_f64 v[68:69], v[70:71], v[68:69]
	v_add_f64 v[70:71], v[182:183], -v[180:181]
	v_fma_f64 v[32:33], v[110:111], s[16:17], -v[168:169]
	v_add_f64 v[166:167], v[28:29], v[24:25]
	v_mul_f64 v[28:29], v[44:45], s[6:7]
	v_add_f64 v[24:25], v[24:25], -v[38:39]
	v_mul_f64 v[36:37], v[110:111], s[16:17]
	v_mul_f64 v[110:111], v[130:131], s[20:21]
	;; [unrolled: 1-line block ×3, first 2 shown]
	v_fma_f64 v[34:35], v[164:165], s[4:5], v[32:33]
	v_fma_f64 v[32:33], v[18:19], s[16:17], -v[170:171]
	v_fma_f64 v[28:29], v[40:41], s[14:15], -v[28:29]
	v_mul_f64 v[18:19], v[18:19], s[16:17]
	v_fma_f64 v[36:37], v[26:27], s[26:27], -v[36:37]
	v_fma_f64 v[38:39], v[40:41], s[22:23], -v[110:111]
	v_fma_f64 v[30:31], v[42:43], s[14:15], -v[30:31]
	v_fma_f64 v[32:33], v[166:167], s[4:5], v[32:33]
	v_add_f64 v[172:173], v[28:29], v[176:177]
	v_fma_f64 v[18:19], v[24:25], s[26:27], -v[18:19]
	v_fma_f64 v[24:25], v[24:25], s[24:25], v[170:171]
	v_add_f64 v[180:181], v[30:31], v[184:185]
	v_add_f64 v[28:29], v[172:173], -v[32:33]
	v_add_f64 v[32:33], v[32:33], v[172:173]
	v_add_f64 v[172:173], v[178:179], -v[182:183]
	v_fma_f64 v[18:19], v[166:167], s[4:5], v[18:19]
	v_add_f64 v[30:31], v[34:35], v[180:181]
	v_add_f64 v[34:35], v[180:181], -v[34:35]
	v_mul_f64 v[130:131], v[172:173], s[20:21]
	v_add_f64 v[172:173], v[38:39], v[176:177]
	v_fma_f64 v[40:41], v[42:43], s[22:23], -v[130:131]
	v_fma_f64 v[42:43], v[164:165], s[4:5], v[36:37]
	v_add_f64 v[36:37], v[18:19], v[172:173]
	v_add_f64 v[174:175], v[40:41], v[184:185]
	v_add_f64 v[40:41], v[172:173], -v[18:19]
	v_fma_f64 v[18:19], v[26:27], s[24:25], v[168:169]
	v_fma_f64 v[26:27], v[44:45], s[6:7], v[110:111]
	;; [unrolled: 1-line block ×4, first 2 shown]
	v_add_f64 v[38:39], v[174:175], -v[42:43]
	v_add_f64 v[42:43], v[42:43], v[174:175]
	v_fma_f64 v[18:19], v[164:165], s[4:5], v[18:19]
	v_add_f64 v[110:111], v[26:27], v[176:177]
	v_add_f64 v[44:45], v[44:45], v[184:185]
	;; [unrolled: 1-line block ×3, first 2 shown]
	v_add_f64 v[26:27], v[44:45], -v[18:19]
	v_add_f64 v[252:253], v[18:19], v[44:45]
	v_add_f64 v[44:45], v[14:15], v[10:11]
	ds_write_b128 v128, v[62:65] offset:2304
	ds_write_b128 v128, v[54:57] offset:4608
	;; [unrolled: 1-line block ×7, first 2 shown]
	v_add_f64 v[18:19], v[186:187], -v[98:99]
	v_add_f64 v[46:47], v[14:15], -v[10:11]
	v_add_f64 v[14:15], v[4:5], -v[14:15]
	v_add_f64 v[10:11], v[10:11], -v[4:5]
	v_add_f64 v[48:49], v[12:13], -v[8:9]
	v_add_f64 v[24:25], v[102:103], -v[106:107]
	v_add_f64 v[26:27], v[106:107], -v[104:105]
	v_add_f64 v[4:5], v[44:45], v[4:5]
	v_add_f64 v[44:45], v[12:13], v[8:9]
	v_add_f64 v[12:13], v[6:7], -v[12:13]
	v_add_f64 v[8:9], v[8:9], -v[6:7]
	v_add_f64 v[250:251], v[110:111], -v[70:71]
	ds_write_b128 v128, v[36:39] offset:5504
	ds_write_b128 v128, v[28:31] offset:7808
	;; [unrolled: 1-line block ×5, first 2 shown]
	v_add_f64 v[44:45], v[44:45], v[6:7]
	v_mul_f64 v[6:7], v[18:19], s[20:21]
	v_mul_f64 v[18:19], v[20:21], s[6:7]
	v_fma_f64 v[20:21], v[20:21], s[6:7], v[6:7]
	v_fma_f64 v[50:51], v[16:17], s[14:15], -v[18:19]
	v_fma_f64 v[16:17], v[16:17], s[22:23], -v[6:7]
	v_mul_f64 v[6:7], v[46:47], s[18:19]
	v_mul_f64 v[18:19], v[10:11], s[16:17]
	v_mul_f64 v[46:47], v[8:9], s[16:17]
	v_fma_f64 v[10:11], v[10:11], s[16:17], -v[6:7]
	v_fma_f64 v[6:7], v[14:15], s[24:25], v[6:7]
	v_fma_f64 v[14:15], v[14:15], s[26:27], -v[18:19]
	v_mul_f64 v[18:19], v[48:49], s[18:19]
	v_fma_f64 v[6:7], v[4:5], s[4:5], v[6:7]
	v_fma_f64 v[48:49], v[8:9], s[16:17], -v[18:19]
	v_fma_f64 v[8:9], v[12:13], s[24:25], v[18:19]
	v_mul_f64 v[18:19], v[24:25], s[20:21]
	v_fma_f64 v[12:13], v[12:13], s[26:27], -v[46:47]
	v_mul_f64 v[24:25], v[26:27], s[6:7]
	v_fma_f64 v[8:9], v[44:45], s[4:5], v[8:9]
	v_fma_f64 v[46:47], v[26:27], s[6:7], v[18:19]
	;; [unrolled: 1-line block ×3, first 2 shown]
	v_fma_f64 v[24:25], v[22:23], s[14:15], -v[24:25]
	v_fma_f64 v[52:53], v[22:23], s[22:23], -v[18:19]
	v_fma_f64 v[18:19], v[4:5], s[4:5], v[14:15]
	v_fma_f64 v[22:23], v[4:5], s[4:5], v[10:11]
	;; [unrolled: 1-line block ×4, first 2 shown]
	v_add_f64 v[14:15], v[20:21], v[26:27]
	v_fma_f64 v[20:21], v[108:109], s[0:1], v[2:3]
	v_add_f64 v[12:13], v[50:51], v[26:27]
	v_add_f64 v[16:17], v[16:17], v[26:27]
	v_add_f64 v[240:241], v[14:15], -v[8:9]
	v_add_f64 v[26:27], v[24:25], v[20:21]
	v_add_f64 v[24:25], v[52:53], v[20:21]
	;; [unrolled: 1-line block ×4, first 2 shown]
	v_add_f64 v[236:237], v[16:17], -v[10:11]
	v_add_f64 v[234:235], v[26:27], -v[22:23]
	v_add_f64 v[238:239], v[18:19], v[24:25]
	v_add_f64 v[242:243], v[6:7], v[20:21]
	s_and_saveexec_b32 s0, vcc_lo
	s_cbranch_execz .LBB0_5
; %bb.4:
	v_add_f64 v[22:23], v[22:23], v[26:27]
	v_add_f64 v[18:19], v[24:25], -v[18:19]
	v_add_f64 v[26:27], v[20:21], -v[6:7]
	v_add_f64 v[24:25], v[8:9], v[14:15]
	v_add_f64 v[16:17], v[10:11], v[16:17]
	v_add_f64 v[20:21], v[12:13], -v[4:5]
	ds_write_b128 v128, v[0:3] offset:1792
	ds_write_b128 v128, v[232:235] offset:11008
	;; [unrolled: 1-line block ×7, first 2 shown]
.LBB0_5:
	s_or_b32 exec_lo, exec_lo, s0
	s_waitcnt lgkmcnt(0)
	s_waitcnt_vscnt null, 0x0
	s_barrier
	buffer_gl0_inv
	s_clause 0x1
	buffer_load_dword v0, off, s[28:31], 0 offset:308
	buffer_load_dword v4, off, s[28:31], 0 offset:304
	s_add_u32 s4, s12, 0x3f00
	s_addc_u32 s5, s13, 0
	v_lshlrev_b32_e32 v34, 4, v129
	v_add_co_u32 v98, s0, s4, v34
	v_add_co_ci_u32_e64 v99, null, s5, 0, s0
	v_add_co_u32 v40, s0, 0x1800, v98
	v_add_co_ci_u32_e64 v41, s0, 0, v99, s0
	v_add_co_u32 v48, s0, 0x2000, v98
	v_add_co_ci_u32_e64 v49, s0, 0, v99, s0
	;; [unrolled: 2-line block ×3, first 2 shown]
	s_waitcnt vmcnt(1)
	global_load_dwordx4 v[0:3], v0, s[4:5]
	s_waitcnt vmcnt(1)
	global_load_dwordx4 v[4:7], v4, s[4:5]
	ds_read_b128 v[8:11], v128 offset:14336
	ds_read_b128 v[12:15], v128 offset:15232
	s_waitcnt vmcnt(1) lgkmcnt(1)
	v_mul_f64 v[16:17], v[10:11], v[2:3]
	v_mul_f64 v[2:3], v[8:9], v[2:3]
	v_fma_f64 v[8:9], v[8:9], v[0:1], -v[16:17]
	v_fma_f64 v[10:11], v[10:11], v[0:1], v[2:3]
	ds_read_b128 v[0:3], v128 offset:7168
	ds_read_b128 v[16:19], v128 offset:8064
	s_waitcnt vmcnt(0) lgkmcnt(1)
	v_mul_f64 v[20:21], v[2:3], v[6:7]
	v_mul_f64 v[6:7], v[0:1], v[6:7]
	v_fma_f64 v[0:1], v[0:1], v[4:5], -v[20:21]
	v_fma_f64 v[2:3], v[2:3], v[4:5], v[6:7]
	s_clause 0x1
	global_load_dwordx4 v[4:7], v34, s[4:5]
	global_load_dwordx4 v[20:23], v34, s[4:5] offset:896
	ds_read_b128 v[24:27], v128
	ds_read_b128 v[28:31], v128 offset:896
	s_waitcnt vmcnt(1) lgkmcnt(1)
	v_mul_f64 v[32:33], v[26:27], v[6:7]
	v_mul_f64 v[6:7], v[24:25], v[6:7]
	v_fma_f64 v[24:25], v[24:25], v[4:5], -v[32:33]
	v_fma_f64 v[26:27], v[26:27], v[4:5], v[6:7]
	s_waitcnt vmcnt(0) lgkmcnt(0)
	v_mul_f64 v[4:5], v[30:31], v[22:23]
	v_mul_f64 v[6:7], v[28:29], v[22:23]
	v_fma_f64 v[4:5], v[28:29], v[20:21], -v[4:5]
	v_fma_f64 v[6:7], v[30:31], v[20:21], v[6:7]
	global_load_dwordx4 v[20:23], v34, s[4:5] offset:1792
	ds_read_b128 v[28:31], v128 offset:1792
	ds_read_b128 v[32:35], v128 offset:2688
	global_load_dwordx4 v[36:39], v[40:41], off offset:128
	s_mov_b32 s5, 0x3febb67a
	s_waitcnt vmcnt(1) lgkmcnt(1)
	v_mul_f64 v[42:43], v[30:31], v[22:23]
	v_mul_f64 v[22:23], v[28:29], v[22:23]
	v_fma_f64 v[28:29], v[28:29], v[20:21], -v[42:43]
	v_fma_f64 v[30:31], v[30:31], v[20:21], v[22:23]
	s_clause 0x1
	global_load_dwordx4 v[20:23], v[40:41], off offset:1920
	global_load_dwordx4 v[40:43], v[48:49], off offset:768
	s_waitcnt vmcnt(1)
	v_mul_f64 v[44:45], v[18:19], v[22:23]
	v_mul_f64 v[22:23], v[16:17], v[22:23]
	v_fma_f64 v[16:17], v[16:17], v[20:21], -v[44:45]
	v_fma_f64 v[18:19], v[18:19], v[20:21], v[22:23]
	ds_read_b128 v[20:23], v128 offset:8960
	ds_read_b128 v[44:47], v128 offset:9856
	s_waitcnt vmcnt(0) lgkmcnt(1)
	v_mul_f64 v[50:51], v[22:23], v[42:43]
	v_mul_f64 v[42:43], v[20:21], v[42:43]
	v_fma_f64 v[20:21], v[20:21], v[40:41], -v[50:51]
	v_fma_f64 v[22:23], v[22:23], v[40:41], v[42:43]
	s_clause 0x1
	global_load_dwordx4 v[40:43], v[48:49], off offset:1664
	global_load_dwordx4 v[48:51], v[52:53], off offset:640
	s_waitcnt vmcnt(1) lgkmcnt(0)
	v_mul_f64 v[54:55], v[46:47], v[42:43]
	v_mul_f64 v[56:57], v[44:45], v[42:43]
	v_fma_f64 v[42:43], v[44:45], v[40:41], -v[54:55]
	v_fma_f64 v[44:45], v[46:47], v[40:41], v[56:57]
	s_waitcnt vmcnt(0)
	v_mul_f64 v[40:41], v[34:35], v[50:51]
	v_mul_f64 v[46:47], v[32:33], v[50:51]
	v_fma_f64 v[32:33], v[32:33], v[48:49], -v[40:41]
	v_add_co_u32 v40, s0, 0x2800, v98
	v_add_co_ci_u32_e64 v41, s0, 0, v99, s0
	v_fma_f64 v[34:35], v[34:35], v[48:49], v[46:47]
	s_clause 0x1
	global_load_dwordx4 v[46:49], v[52:53], off offset:1536
	global_load_dwordx4 v[50:53], v[40:41], off offset:512
	ds_read_b128 v[54:57], v128 offset:10752
	ds_read_b128 v[58:61], v128 offset:11648
	s_waitcnt vmcnt(0) lgkmcnt(1)
	v_mul_f64 v[62:63], v[56:57], v[52:53]
	v_mul_f64 v[64:65], v[54:55], v[52:53]
	v_fma_f64 v[52:53], v[54:55], v[50:51], -v[62:63]
	v_fma_f64 v[54:55], v[56:57], v[50:51], v[64:65]
	ds_read_b128 v[62:65], v128 offset:3584
	ds_read_b128 v[66:69], v128 offset:4480
	s_waitcnt lgkmcnt(1)
	v_mul_f64 v[50:51], v[64:65], v[48:49]
	v_mul_f64 v[56:57], v[62:63], v[48:49]
	v_fma_f64 v[48:49], v[62:63], v[46:47], -v[50:51]
	v_fma_f64 v[50:51], v[64:65], v[46:47], v[56:57]
	v_add_co_u32 v46, s0, 0x1000, v98
	v_add_co_ci_u32_e64 v47, s0, 0, v99, s0
	s_clause 0x1
	global_load_dwordx4 v[62:65], v[40:41], off offset:1408
	global_load_dwordx4 v[244:247], v[46:47], off offset:384
	s_waitcnt vmcnt(1)
	v_mul_f64 v[40:41], v[60:61], v[64:65]
	v_mul_f64 v[64:65], v[58:59], v[64:65]
	v_fma_f64 v[56:57], v[58:59], v[62:63], -v[40:41]
	s_waitcnt vmcnt(0) lgkmcnt(0)
	v_mul_f64 v[40:41], v[68:69], v[246:247]
	v_fma_f64 v[58:59], v[60:61], v[62:63], v[64:65]
	v_mul_f64 v[62:63], v[66:67], v[246:247]
	v_fma_f64 v[60:61], v[66:67], v[244:245], -v[40:41]
	v_add_co_u32 v40, s0, 0x3000, v98
	v_add_co_ci_u32_e64 v41, s0, 0, v99, s0
	v_fma_f64 v[62:63], v[68:69], v[244:245], v[62:63]
	s_clause 0x1
	global_load_dwordx4 v[64:67], v[46:47], off offset:1280
	global_load_dwordx4 v[68:71], v[40:41], off offset:256
	ds_read_b128 v[244:247], v128 offset:12544
	ds_read_b128 v[248:251], v128 offset:13440
	s_waitcnt vmcnt(0) lgkmcnt(1)
	v_mul_f64 v[46:47], v[246:247], v[70:71]
	v_mul_f64 v[70:71], v[244:245], v[70:71]
	v_fma_f64 v[244:245], v[244:245], v[68:69], -v[46:47]
	v_fma_f64 v[246:247], v[246:247], v[68:69], v[70:71]
	ds_read_b128 v[68:71], v128 offset:5376
	ds_read_b128 v[252:255], v128 offset:6272
	s_waitcnt lgkmcnt(1)
	v_mul_f64 v[46:47], v[70:71], v[66:67]
	v_mul_f64 v[96:97], v[68:69], v[66:67]
	v_fma_f64 v[66:67], v[68:69], v[64:65], -v[46:47]
	v_add_co_u32 v46, s0, 0x3800, v98
	v_add_co_ci_u32_e64 v47, s0, 0, v99, s0
	s_clause 0x1
	global_load_dwordx4 v[164:167], v[40:41], off offset:1152
	global_load_dwordx4 v[168:171], v[46:47], off offset:896
	v_fma_f64 v[68:69], v[70:71], v[64:65], v[96:97]
	v_lshlrev_b32_e32 v96, 5, v129
	s_mov_b32 s0, 0xe8584caa
	s_mov_b32 s1, 0xbfebb67a
	;; [unrolled: 1-line block ×3, first 2 shown]
	s_waitcnt vmcnt(1)
	v_mul_f64 v[40:41], v[250:251], v[166:167]
	v_mul_f64 v[46:47], v[248:249], v[166:167]
	v_fma_f64 v[248:249], v[248:249], v[164:165], -v[40:41]
	v_fma_f64 v[250:251], v[250:251], v[164:165], v[46:47]
	s_waitcnt lgkmcnt(0)
	v_mul_f64 v[40:41], v[254:255], v[38:39]
	v_mul_f64 v[46:47], v[252:253], v[38:39]
	v_fma_f64 v[38:39], v[252:253], v[36:37], -v[40:41]
	v_fma_f64 v[40:41], v[254:255], v[36:37], v[46:47]
	s_waitcnt vmcnt(0)
	v_mul_f64 v[36:37], v[14:15], v[170:171]
	v_mul_f64 v[46:47], v[12:13], v[170:171]
	v_fma_f64 v[12:13], v[12:13], v[168:169], -v[36:37]
	v_fma_f64 v[14:15], v[14:15], v[168:169], v[46:47]
	ds_write_b128 v128, v[8:11] offset:14336
	ds_write_b128 v128, v[0:3] offset:7168
	ds_write_b128 v128, v[24:27]
	ds_write_b128 v128, v[4:7] offset:896
	ds_write_b128 v128, v[28:31] offset:1792
	;; [unrolled: 1-line block ×15, first 2 shown]
	s_waitcnt lgkmcnt(0)
	s_barrier
	buffer_gl0_inv
	ds_read_b128 v[0:3], v128 offset:8064
	ds_read_b128 v[4:7], v128
	ds_read_b128 v[8:11], v128 offset:896
	ds_read_b128 v[12:15], v128 offset:7168
	;; [unrolled: 1-line block ×16, first 2 shown]
	s_waitcnt lgkmcnt(0)
	s_barrier
	buffer_gl0_inv
	v_add_f64 v[0:1], v[4:5], -v[0:1]
	v_add_f64 v[2:3], v[6:7], -v[2:3]
	v_fma_f64 v[4:5], v[4:5], 2.0, -v[0:1]
	v_fma_f64 v[6:7], v[6:7], 2.0, -v[2:3]
	ds_write_b128 v96, v[0:3] offset:16
	ds_write_b128 v96, v[4:7]
	v_add_f64 v[0:1], v[8:9], -v[16:17]
	v_add_f64 v[2:3], v[10:11], -v[18:19]
	v_fma_f64 v[4:5], v[8:9], 2.0, -v[0:1]
	buffer_load_dword v8, off, s[28:31], 0 offset:364 ; 4-byte Folded Reload
	v_fma_f64 v[6:7], v[10:11], 2.0, -v[2:3]
	s_waitcnt vmcnt(0)
	ds_write_b128 v8, v[4:7]
	ds_write_b128 v8, v[0:3] offset:16
	buffer_load_dword v8, off, s[28:31], 0 offset:360 ; 4-byte Folded Reload
	v_add_f64 v[0:1], v[24:25], -v[20:21]
	v_add_f64 v[2:3], v[26:27], -v[22:23]
	v_fma_f64 v[4:5], v[24:25], 2.0, -v[0:1]
	v_fma_f64 v[6:7], v[26:27], 2.0, -v[2:3]
	s_waitcnt vmcnt(0)
	ds_write_b128 v8, v[4:7]
	ds_write_b128 v8, v[0:3] offset:16
	buffer_load_dword v8, off, s[28:31], 0 offset:332 ; 4-byte Folded Reload
	v_add_f64 v[0:1], v[28:29], -v[32:33]
	v_add_f64 v[2:3], v[30:31], -v[34:35]
	v_fma_f64 v[4:5], v[28:29], 2.0, -v[0:1]
	;; [unrolled: 8-line block ×7, first 2 shown]
	v_fma_f64 v[6:7], v[14:15], 2.0, -v[2:3]
	s_waitcnt vmcnt(0)
	ds_write_b128 v8, v[4:7]
	ds_write_b128 v8, v[0:3] offset:16
	s_waitcnt lgkmcnt(0)
	s_barrier
	buffer_gl0_inv
	ds_read_b128 v[0:3], v128 offset:8064
	ds_read_b128 v[4:7], v128 offset:7168
	s_waitcnt lgkmcnt(1)
	v_mul_f64 v[8:9], v[74:75], v[2:3]
	v_fma_f64 v[12:13], v[72:73], v[0:1], v[8:9]
	v_mul_f64 v[0:1], v[74:75], v[0:1]
	v_fma_f64 v[14:15], v[72:73], v[2:3], -v[0:1]
	ds_read_b128 v[0:3], v128 offset:8960
	ds_read_b128 v[8:11], v128 offset:9856
	s_waitcnt lgkmcnt(1)
	v_mul_f64 v[16:17], v[74:75], v[2:3]
	v_fma_f64 v[40:41], v[72:73], v[0:1], v[16:17]
	v_mul_f64 v[0:1], v[74:75], v[0:1]
	v_fma_f64 v[42:43], v[72:73], v[2:3], -v[0:1]
	s_waitcnt lgkmcnt(0)
	v_mul_f64 v[0:1], v[74:75], v[10:11]
	v_fma_f64 v[44:45], v[72:73], v[8:9], v[0:1]
	v_mul_f64 v[0:1], v[74:75], v[8:9]
	v_fma_f64 v[46:47], v[72:73], v[10:11], -v[0:1]
	ds_read_b128 v[0:3], v128 offset:10752
	ds_read_b128 v[8:11], v128 offset:11648
	s_waitcnt lgkmcnt(1)
	v_mul_f64 v[16:17], v[74:75], v[2:3]
	v_fma_f64 v[48:49], v[72:73], v[0:1], v[16:17]
	v_mul_f64 v[0:1], v[74:75], v[0:1]
	v_fma_f64 v[50:51], v[72:73], v[2:3], -v[0:1]
	;; [unrolled: 12-line block ×4, first 2 shown]
	s_waitcnt lgkmcnt(0)
	v_mul_f64 v[0:1], v[74:75], v[10:11]
	v_fma_f64 v[68:69], v[72:73], v[8:9], v[0:1]
	v_mul_f64 v[0:1], v[74:75], v[8:9]
	v_fma_f64 v[70:71], v[72:73], v[10:11], -v[0:1]
	ds_read_b128 v[0:3], v128
	ds_read_b128 v[8:11], v128 offset:896
	ds_read_b128 v[16:19], v128 offset:1792
	;; [unrolled: 1-line block ×7, first 2 shown]
	s_waitcnt lgkmcnt(0)
	s_barrier
	buffer_gl0_inv
	buffer_load_dword v72, off, s[28:31], 0 offset:400 ; 4-byte Folded Reload
	v_add_f64 v[12:13], v[0:1], -v[12:13]
	v_add_f64 v[14:15], v[2:3], -v[14:15]
	v_fma_f64 v[0:1], v[0:1], 2.0, -v[12:13]
	v_fma_f64 v[2:3], v[2:3], 2.0, -v[14:15]
	s_waitcnt vmcnt(0)
	ds_write_b128 v72, v[12:15] offset:32
	ds_write_b128 v72, v[0:3]
	buffer_load_dword v12, off, s[28:31], 0 offset:396 ; 4-byte Folded Reload
	v_add_f64 v[0:1], v[8:9], -v[40:41]
	v_add_f64 v[2:3], v[10:11], -v[42:43]
	v_fma_f64 v[8:9], v[8:9], 2.0, -v[0:1]
	v_fma_f64 v[10:11], v[10:11], 2.0, -v[2:3]
	s_waitcnt vmcnt(0)
	ds_write_b128 v12, v[8:11]
	ds_write_b128 v12, v[0:3] offset:32
	buffer_load_dword v12, off, s[28:31], 0 offset:392 ; 4-byte Folded Reload
	v_add_f64 v[0:1], v[16:17], -v[44:45]
	v_add_f64 v[2:3], v[18:19], -v[46:47]
	v_fma_f64 v[8:9], v[16:17], 2.0, -v[0:1]
	v_fma_f64 v[10:11], v[18:19], 2.0, -v[2:3]
	s_waitcnt vmcnt(0)
	ds_write_b128 v12, v[8:11]
	ds_write_b128 v12, v[0:3] offset:32
	;; [unrolled: 8-line block ×8, first 2 shown]
	s_waitcnt lgkmcnt(0)
	s_barrier
	buffer_gl0_inv
	ds_read_b128 v[0:3], v128 offset:8064
	ds_read_b128 v[4:7], v128 offset:7168
	s_waitcnt lgkmcnt(1)
	v_mul_f64 v[8:9], v[78:79], v[2:3]
	v_fma_f64 v[12:13], v[76:77], v[0:1], v[8:9]
	v_mul_f64 v[0:1], v[78:79], v[0:1]
	v_fma_f64 v[14:15], v[76:77], v[2:3], -v[0:1]
	ds_read_b128 v[0:3], v128 offset:8960
	ds_read_b128 v[8:11], v128 offset:9856
	s_waitcnt lgkmcnt(1)
	v_mul_f64 v[16:17], v[78:79], v[2:3]
	v_fma_f64 v[40:41], v[76:77], v[0:1], v[16:17]
	v_mul_f64 v[0:1], v[78:79], v[0:1]
	v_fma_f64 v[42:43], v[76:77], v[2:3], -v[0:1]
	s_waitcnt lgkmcnt(0)
	v_mul_f64 v[0:1], v[78:79], v[10:11]
	v_fma_f64 v[44:45], v[76:77], v[8:9], v[0:1]
	v_mul_f64 v[0:1], v[78:79], v[8:9]
	v_fma_f64 v[46:47], v[76:77], v[10:11], -v[0:1]
	ds_read_b128 v[0:3], v128 offset:10752
	ds_read_b128 v[8:11], v128 offset:11648
	s_waitcnt lgkmcnt(1)
	v_mul_f64 v[16:17], v[78:79], v[2:3]
	v_fma_f64 v[48:49], v[76:77], v[0:1], v[16:17]
	v_mul_f64 v[0:1], v[78:79], v[0:1]
	v_fma_f64 v[50:51], v[76:77], v[2:3], -v[0:1]
	;; [unrolled: 12-line block ×4, first 2 shown]
	s_waitcnt lgkmcnt(0)
	v_mul_f64 v[0:1], v[78:79], v[10:11]
	v_fma_f64 v[68:69], v[76:77], v[8:9], v[0:1]
	v_mul_f64 v[0:1], v[78:79], v[8:9]
	v_fma_f64 v[70:71], v[76:77], v[10:11], -v[0:1]
	ds_read_b128 v[0:3], v128
	ds_read_b128 v[8:11], v128 offset:896
	ds_read_b128 v[16:19], v128 offset:1792
	;; [unrolled: 1-line block ×7, first 2 shown]
	s_waitcnt lgkmcnt(0)
	s_barrier
	buffer_gl0_inv
	buffer_load_dword v72, off, s[28:31], 0 offset:528 ; 4-byte Folded Reload
	v_add_f64 v[12:13], v[0:1], -v[12:13]
	v_add_f64 v[14:15], v[2:3], -v[14:15]
	v_fma_f64 v[0:1], v[0:1], 2.0, -v[12:13]
	v_fma_f64 v[2:3], v[2:3], 2.0, -v[14:15]
	s_waitcnt vmcnt(0)
	ds_write_b128 v72, v[12:15] offset:64
	ds_write_b128 v72, v[0:3]
	buffer_load_dword v12, off, s[28:31], 0 offset:508 ; 4-byte Folded Reload
	v_add_f64 v[0:1], v[8:9], -v[40:41]
	v_add_f64 v[2:3], v[10:11], -v[42:43]
	v_add_f64 v[14:15], v[6:7], -v[70:71]
	v_fma_f64 v[8:9], v[8:9], 2.0, -v[0:1]
	v_fma_f64 v[10:11], v[10:11], 2.0, -v[2:3]
	;; [unrolled: 1-line block ×3, first 2 shown]
	s_waitcnt vmcnt(0)
	ds_write_b128 v12, v[8:11]
	ds_write_b128 v12, v[0:3] offset:64
	buffer_load_dword v12, off, s[28:31], 0 offset:504 ; 4-byte Folded Reload
	v_add_f64 v[0:1], v[16:17], -v[44:45]
	v_add_f64 v[2:3], v[18:19], -v[46:47]
	v_fma_f64 v[8:9], v[16:17], 2.0, -v[0:1]
	v_fma_f64 v[10:11], v[18:19], 2.0, -v[2:3]
	s_waitcnt vmcnt(0)
	ds_write_b128 v12, v[8:11]
	ds_write_b128 v12, v[0:3] offset:64
	buffer_load_dword v12, off, s[28:31], 0 offset:500 ; 4-byte Folded Reload
	v_add_f64 v[0:1], v[20:21], -v[48:49]
	v_add_f64 v[2:3], v[22:23], -v[50:51]
	v_fma_f64 v[8:9], v[20:21], 2.0, -v[0:1]
	v_fma_f64 v[10:11], v[22:23], 2.0, -v[2:3]
	;; [unrolled: 8-line block ×5, first 2 shown]
	s_waitcnt vmcnt(0)
	ds_write_b128 v12, v[8:11]
	ds_write_b128 v12, v[0:3] offset:64
	buffer_load_dword v16, off, s[28:31], 0 offset:476 ; 4-byte Folded Reload
	v_add_f64 v[0:1], v[36:37], -v[64:65]
	v_add_f64 v[2:3], v[38:39], -v[66:67]
	;; [unrolled: 1-line block ×3, first 2 shown]
	v_fma_f64 v[8:9], v[36:37], 2.0, -v[0:1]
	v_fma_f64 v[10:11], v[38:39], 2.0, -v[2:3]
	;; [unrolled: 1-line block ×3, first 2 shown]
	s_waitcnt vmcnt(0)
	ds_write_b128 v16, v[8:11]
	ds_write_b128 v16, v[0:3] offset:64
	buffer_load_dword v0, off, s[28:31], 0 offset:472 ; 4-byte Folded Reload
	s_waitcnt vmcnt(0)
	ds_write_b128 v0, v[4:7]
	ds_write_b128 v0, v[12:15] offset:64
	s_waitcnt lgkmcnt(0)
	s_barrier
	buffer_gl0_inv
	ds_read_b128 v[0:3], v128 offset:8064
	ds_read_b128 v[4:7], v128 offset:7168
	;; [unrolled: 1-line block ×3, first 2 shown]
	s_waitcnt lgkmcnt(2)
	v_mul_f64 v[12:13], v[82:83], v[2:3]
	v_mul_f64 v[14:15], v[82:83], v[0:1]
	v_fma_f64 v[12:13], v[80:81], v[0:1], v[12:13]
	v_fma_f64 v[14:15], v[80:81], v[2:3], -v[14:15]
	ds_read_b128 v[0:3], v128 offset:9856
	s_waitcnt lgkmcnt(1)
	v_mul_f64 v[16:17], v[82:83], v[10:11]
	v_fma_f64 v[40:41], v[80:81], v[8:9], v[16:17]
	v_mul_f64 v[8:9], v[82:83], v[8:9]
	v_fma_f64 v[42:43], v[80:81], v[10:11], -v[8:9]
	s_waitcnt lgkmcnt(0)
	v_mul_f64 v[8:9], v[82:83], v[2:3]
	v_fma_f64 v[44:45], v[80:81], v[0:1], v[8:9]
	v_mul_f64 v[0:1], v[82:83], v[0:1]
	v_fma_f64 v[46:47], v[80:81], v[2:3], -v[0:1]
	ds_read_b128 v[0:3], v128 offset:10752
	ds_read_b128 v[8:11], v128 offset:11648
	s_waitcnt lgkmcnt(1)
	v_mul_f64 v[16:17], v[82:83], v[2:3]
	v_fma_f64 v[48:49], v[80:81], v[0:1], v[16:17]
	v_mul_f64 v[0:1], v[82:83], v[0:1]
	v_fma_f64 v[50:51], v[80:81], v[2:3], -v[0:1]
	s_waitcnt lgkmcnt(0)
	v_mul_f64 v[0:1], v[82:83], v[10:11]
	v_fma_f64 v[52:53], v[80:81], v[8:9], v[0:1]
	v_mul_f64 v[0:1], v[82:83], v[8:9]
	v_fma_f64 v[54:55], v[80:81], v[10:11], -v[0:1]
	ds_read_b128 v[0:3], v128 offset:12544
	;; [unrolled: 12-line block ×3, first 2 shown]
	ds_read_b128 v[8:11], v128 offset:15232
	s_waitcnt lgkmcnt(1)
	v_mul_f64 v[16:17], v[82:83], v[2:3]
	v_fma_f64 v[64:65], v[80:81], v[0:1], v[16:17]
	v_mul_f64 v[0:1], v[82:83], v[0:1]
	v_fma_f64 v[66:67], v[80:81], v[2:3], -v[0:1]
	s_waitcnt lgkmcnt(0)
	v_mul_f64 v[0:1], v[82:83], v[10:11]
	v_fma_f64 v[68:69], v[80:81], v[8:9], v[0:1]
	v_mul_f64 v[0:1], v[82:83], v[8:9]
	v_fma_f64 v[70:71], v[80:81], v[10:11], -v[0:1]
	ds_read_b128 v[0:3], v128
	ds_read_b128 v[8:11], v128 offset:896
	ds_read_b128 v[16:19], v128 offset:1792
	;; [unrolled: 1-line block ×7, first 2 shown]
	s_waitcnt lgkmcnt(0)
	s_barrier
	buffer_gl0_inv
	buffer_load_dword v72, off, s[28:31], 0 offset:460 ; 4-byte Folded Reload
	v_add_f64 v[12:13], v[0:1], -v[12:13]
	v_add_f64 v[14:15], v[2:3], -v[14:15]
	v_fma_f64 v[0:1], v[0:1], 2.0, -v[12:13]
	v_fma_f64 v[2:3], v[2:3], 2.0, -v[14:15]
	s_waitcnt vmcnt(0)
	ds_write_b128 v72, v[12:15] offset:128
	ds_write_b128 v72, v[0:3]
	buffer_load_dword v12, off, s[28:31], 0 offset:468 ; 4-byte Folded Reload
	v_add_f64 v[0:1], v[8:9], -v[40:41]
	v_add_f64 v[2:3], v[10:11], -v[42:43]
	;; [unrolled: 1-line block ×3, first 2 shown]
	v_fma_f64 v[8:9], v[8:9], 2.0, -v[0:1]
	v_fma_f64 v[10:11], v[10:11], 2.0, -v[2:3]
	s_waitcnt vmcnt(0)
	ds_write_b128 v12, v[8:11]
	ds_write_b128 v12, v[0:3] offset:128
	buffer_load_dword v12, off, s[28:31], 0 offset:464 ; 4-byte Folded Reload
	v_add_f64 v[0:1], v[16:17], -v[44:45]
	v_add_f64 v[2:3], v[18:19], -v[46:47]
	v_fma_f64 v[8:9], v[16:17], 2.0, -v[0:1]
	v_fma_f64 v[10:11], v[18:19], 2.0, -v[2:3]
	v_fma_f64 v[18:19], v[38:39], 2.0, -v[14:15]
	s_waitcnt vmcnt(0)
	ds_write_b128 v12, v[8:11]
	ds_write_b128 v12, v[0:3] offset:128
	buffer_load_dword v12, off, s[28:31], 0 offset:456 ; 4-byte Folded Reload
	v_add_f64 v[0:1], v[20:21], -v[48:49]
	v_add_f64 v[2:3], v[22:23], -v[50:51]
	v_fma_f64 v[8:9], v[20:21], 2.0, -v[0:1]
	v_fma_f64 v[10:11], v[22:23], 2.0, -v[2:3]
	v_add_f64 v[20:21], v[4:5], -v[68:69]
	v_add_f64 v[22:23], v[6:7], -v[70:71]
	s_waitcnt vmcnt(0)
	ds_write_b128 v12, v[8:11]
	ds_write_b128 v12, v[0:3] offset:128
	buffer_load_dword v12, off, s[28:31], 0 offset:452 ; 4-byte Folded Reload
	v_add_f64 v[0:1], v[24:25], -v[52:53]
	v_add_f64 v[2:3], v[26:27], -v[54:55]
	v_fma_f64 v[4:5], v[4:5], 2.0, -v[20:21]
	v_fma_f64 v[6:7], v[6:7], 2.0, -v[22:23]
	;; [unrolled: 1-line block ×4, first 2 shown]
	s_waitcnt vmcnt(0)
	ds_write_b128 v12, v[8:11]
	ds_write_b128 v12, v[0:3] offset:128
	buffer_load_dword v12, off, s[28:31], 0 offset:448 ; 4-byte Folded Reload
	v_add_f64 v[0:1], v[28:29], -v[56:57]
	v_add_f64 v[2:3], v[30:31], -v[58:59]
	v_fma_f64 v[8:9], v[28:29], 2.0, -v[0:1]
	v_fma_f64 v[10:11], v[30:31], 2.0, -v[2:3]
	s_waitcnt vmcnt(0)
	ds_write_b128 v12, v[8:11]
	ds_write_b128 v12, v[0:3] offset:128
	buffer_load_dword v24, off, s[28:31], 0 offset:420 ; 4-byte Folded Reload
	v_add_f64 v[0:1], v[32:33], -v[60:61]
	v_add_f64 v[2:3], v[34:35], -v[62:63]
	;; [unrolled: 1-line block ×3, first 2 shown]
	v_fma_f64 v[8:9], v[32:33], 2.0, -v[0:1]
	v_fma_f64 v[10:11], v[34:35], 2.0, -v[2:3]
	;; [unrolled: 1-line block ×3, first 2 shown]
	s_waitcnt vmcnt(0)
	ds_write_b128 v24, v[8:11]
	ds_write_b128 v24, v[0:3] offset:128
	buffer_load_dword v0, off, s[28:31], 0 offset:440 ; 4-byte Folded Reload
	s_waitcnt vmcnt(0)
	ds_write_b128 v0, v[16:19]
	ds_write_b128 v0, v[12:15] offset:128
	buffer_load_dword v0, off, s[28:31], 0 offset:444 ; 4-byte Folded Reload
	s_waitcnt vmcnt(0)
	ds_write_b128 v0, v[4:7]
	ds_write_b128 v0, v[20:23] offset:128
	s_waitcnt lgkmcnt(0)
	s_barrier
	buffer_gl0_inv
	ds_read_b128 v[0:3], v128 offset:8064
	ds_read_b128 v[4:7], v128 offset:13440
	;; [unrolled: 1-line block ×3, first 2 shown]
	s_clause 0x3
	buffer_load_dword v28, off, s[28:31], 0 offset:532
	buffer_load_dword v29, off, s[28:31], 0 offset:536
	buffer_load_dword v30, off, s[28:31], 0 offset:540
	buffer_load_dword v31, off, s[28:31], 0 offset:544
	ds_read_b128 v[12:15], v128 offset:12544
	ds_read_b128 v[16:19], v128 offset:5376
	s_waitcnt vmcnt(0) lgkmcnt(4)
	v_mul_f64 v[20:21], v[30:31], v[2:3]
	v_mul_f64 v[22:23], v[30:31], v[0:1]
	s_clause 0x3
	buffer_load_dword v30, off, s[28:31], 0 offset:512
	buffer_load_dword v31, off, s[28:31], 0 offset:516
	;; [unrolled: 1-line block ×4, first 2 shown]
	v_fma_f64 v[36:37], v[28:29], v[0:1], v[20:21]
	v_fma_f64 v[38:39], v[28:29], v[2:3], -v[22:23]
	s_waitcnt lgkmcnt(2)
	v_mul_f64 v[28:29], v[90:91], v[10:11]
	ds_read_b128 v[0:3], v128 offset:6272
	s_waitcnt lgkmcnt(1)
	v_mul_f64 v[20:21], v[90:91], v[18:19]
	v_mul_f64 v[22:23], v[90:91], v[16:17]
	v_fma_f64 v[20:21], v[88:89], v[16:17], v[20:21]
	v_fma_f64 v[22:23], v[88:89], v[18:19], -v[22:23]
	ds_read_b128 v[16:19], v128 offset:9856
	s_waitcnt vmcnt(0)
	v_mul_f64 v[24:25], v[32:33], v[6:7]
	v_mul_f64 v[26:27], v[32:33], v[4:5]
	v_fma_f64 v[32:33], v[88:89], v[8:9], v[28:29]
	v_fma_f64 v[40:41], v[30:31], v[4:5], v[24:25]
	v_fma_f64 v[42:43], v[30:31], v[6:7], -v[26:27]
	ds_read_b128 v[4:7], v128 offset:8960
	v_mul_f64 v[24:25], v[90:91], v[8:9]
	s_waitcnt lgkmcnt(0)
	v_mul_f64 v[26:27], v[90:91], v[6:7]
	v_mul_f64 v[8:9], v[90:91], v[4:5]
	v_fma_f64 v[34:35], v[88:89], v[10:11], -v[24:25]
	v_fma_f64 v[44:45], v[88:89], v[4:5], v[26:27]
	v_fma_f64 v[46:47], v[88:89], v[6:7], -v[8:9]
	ds_read_b128 v[4:7], v128 offset:10752
	ds_read_b128 v[8:11], v128 offset:11648
	s_waitcnt lgkmcnt(1)
	v_mul_f64 v[24:25], v[94:95], v[6:7]
	v_fma_f64 v[24:25], v[92:93], v[4:5], v[24:25]
	v_mul_f64 v[4:5], v[94:95], v[4:5]
	v_fma_f64 v[26:27], v[92:93], v[6:7], -v[4:5]
	v_mul_f64 v[4:5], v[94:95], v[14:15]
	v_fma_f64 v[48:49], v[92:93], v[12:13], v[4:5]
	v_mul_f64 v[4:5], v[94:95], v[12:13]
	v_fma_f64 v[50:51], v[92:93], v[14:15], -v[4:5]
	ds_read_b128 v[4:7], v128 offset:14336
	ds_read_b128 v[12:15], v128 offset:15232
	s_waitcnt lgkmcnt(1)
	v_mul_f64 v[28:29], v[94:95], v[6:7]
	v_fma_f64 v[52:53], v[92:93], v[4:5], v[28:29]
	v_mul_f64 v[4:5], v[94:95], v[4:5]
	v_fma_f64 v[54:55], v[92:93], v[6:7], -v[4:5]
	s_clause 0x5
	buffer_load_dword v6, off, s[28:31], 0 offset:488
	buffer_load_dword v7, off, s[28:31], 0 offset:492
	;; [unrolled: 1-line block ×6, first 2 shown]
	s_waitcnt vmcnt(4) lgkmcnt(0)
	v_mul_f64 v[4:5], v[6:7], v[14:15]
	v_mul_f64 v[6:7], v[6:7], v[12:13]
	s_waitcnt vmcnt(2)
	v_fma_f64 v[56:57], v[28:29], v[12:13], v[4:5]
	v_fma_f64 v[58:59], v[28:29], v[14:15], -v[6:7]
	s_clause 0x3
	buffer_load_dword v12, off, s[28:31], 0 offset:404
	buffer_load_dword v13, off, s[28:31], 0 offset:408
	;; [unrolled: 1-line block ×4, first 2 shown]
	s_waitcnt vmcnt(4)
	v_mul_f64 v[4:5], v[30:31], v[10:11]
	v_mul_f64 v[6:7], v[30:31], v[8:9]
	s_clause 0x3
	buffer_load_dword v28, off, s[28:31], 0 offset:344
	buffer_load_dword v29, off, s[28:31], 0 offset:348
	;; [unrolled: 1-line block ×4, first 2 shown]
	s_waitcnt vmcnt(4)
	v_fma_f64 v[60:61], v[14:15], v[8:9], v[4:5]
	v_fma_f64 v[62:63], v[14:15], v[10:11], -v[6:7]
	v_mul_f64 v[4:5], v[12:13], v[18:19]
	v_mul_f64 v[6:7], v[12:13], v[16:17]
	v_add_f64 v[12:13], v[20:21], v[24:25]
	s_waitcnt vmcnt(2)
	v_fma_f64 v[64:65], v[28:29], v[16:17], v[4:5]
	v_fma_f64 v[66:67], v[28:29], v[18:19], -v[6:7]
	ds_read_b128 v[4:7], v128
	ds_read_b128 v[8:11], v128 offset:896
	v_add_f64 v[16:17], v[22:23], -v[26:27]
	s_waitcnt lgkmcnt(1)
	v_fma_f64 v[14:15], v[12:13], -0.5, v[4:5]
	v_add_f64 v[4:5], v[4:5], v[20:21]
	v_add_f64 v[20:21], v[20:21], -v[24:25]
	v_add_f64 v[12:13], v[22:23], v[26:27]
	v_add_f64 v[4:5], v[4:5], v[24:25]
	s_clause 0x1
	buffer_load_dword v24, off, s[28:31], 0 offset:336
	buffer_load_dword v25, off, s[28:31], 0 offset:340
	v_fma_f64 v[18:19], v[12:13], -0.5, v[6:7]
	v_add_f64 v[6:7], v[6:7], v[22:23]
	v_fma_f64 v[12:13], v[16:17], s[0:1], v[14:15]
	v_fma_f64 v[16:17], v[16:17], s[4:5], v[14:15]
	s_waitcnt vmcnt(2)
	v_mul_f64 v[22:23], v[30:31], v[0:1]
	v_fma_f64 v[14:15], v[20:21], s[4:5], v[18:19]
	v_fma_f64 v[18:19], v[20:21], s[0:1], v[18:19]
	v_mul_f64 v[20:21], v[30:31], v[2:3]
	v_add_f64 v[6:7], v[6:7], v[26:27]
	s_waitcnt vmcnt(0)
	v_fma_f64 v[68:69], v[24:25], v[0:1], v[20:21]
	v_fma_f64 v[70:71], v[24:25], v[2:3], -v[22:23]
	ds_read_b128 v[0:3], v128 offset:1792
	ds_read_b128 v[20:23], v128 offset:2688
	;; [unrolled: 1-line block ×4, first 2 shown]
	s_waitcnt lgkmcnt(0)
	s_barrier
	buffer_gl0_inv
	buffer_load_dword v72, off, s[28:31], 0 offset:584 ; 4-byte Folded Reload
	s_waitcnt vmcnt(0)
	ds_write_b128 v72, v[4:7]
	ds_write_b128 v72, v[12:15] offset:256
	ds_write_b128 v72, v[16:19] offset:512
	v_add_f64 v[4:5], v[68:69], v[60:61]
	v_add_f64 v[16:17], v[68:69], -v[60:61]
	v_fma_f64 v[12:13], v[4:5], -0.5, v[8:9]
	v_add_f64 v[4:5], v[70:71], v[62:63]
	v_add_f64 v[8:9], v[8:9], v[68:69]
	v_fma_f64 v[14:15], v[4:5], -0.5, v[10:11]
	v_add_f64 v[4:5], v[10:11], v[70:71]
	v_add_f64 v[10:11], v[70:71], -v[62:63]
	v_add_f64 v[6:7], v[4:5], v[62:63]
	v_add_f64 v[4:5], v[8:9], v[60:61]
	v_fma_f64 v[8:9], v[10:11], s[0:1], v[12:13]
	v_fma_f64 v[12:13], v[10:11], s[4:5], v[12:13]
	;; [unrolled: 1-line block ×4, first 2 shown]
	v_add_f64 v[16:17], v[32:33], v[48:49]
	v_add_f64 v[62:63], v[66:67], -v[58:59]
	v_fma_f64 v[18:19], v[16:17], -0.5, v[0:1]
	v_add_f64 v[16:17], v[34:35], v[50:51]
	v_add_f64 v[0:1], v[0:1], v[32:33]
	v_fma_f64 v[60:61], v[16:17], -0.5, v[2:3]
	v_add_f64 v[2:3], v[2:3], v[34:35]
	v_add_f64 v[34:35], v[34:35], -v[50:51]
	v_add_f64 v[0:1], v[0:1], v[48:49]
	v_add_f64 v[48:49], v[32:33], -v[48:49]
	v_add_f64 v[2:3], v[2:3], v[50:51]
	v_fma_f64 v[16:17], v[34:35], s[0:1], v[18:19]
	v_fma_f64 v[32:33], v[34:35], s[4:5], v[18:19]
	;; [unrolled: 1-line block ×4, first 2 shown]
	v_add_f64 v[48:49], v[36:37], v[40:41]
	v_add_f64 v[50:51], v[38:39], v[42:43]
	v_fma_f64 v[48:49], v[48:49], -0.5, v[20:21]
	v_fma_f64 v[50:51], v[50:51], -0.5, v[22:23]
	v_add_f64 v[22:23], v[22:23], v[38:39]
	v_add_f64 v[20:21], v[20:21], v[36:37]
	v_add_f64 v[38:39], v[38:39], -v[42:43]
	v_add_f64 v[22:23], v[22:23], v[42:43]
	v_add_f64 v[20:21], v[20:21], v[40:41]
	v_add_f64 v[42:43], v[36:37], -v[40:41]
	v_fma_f64 v[36:37], v[38:39], s[0:1], v[48:49]
	v_fma_f64 v[40:41], v[38:39], s[4:5], v[48:49]
	v_add_f64 v[48:49], v[44:45], v[52:53]
	v_fma_f64 v[38:39], v[42:43], s[4:5], v[50:51]
	v_fma_f64 v[42:43], v[42:43], s[0:1], v[50:51]
	v_add_f64 v[50:51], v[46:47], v[54:55]
	v_fma_f64 v[48:49], v[48:49], -0.5, v[24:25]
	v_add_f64 v[24:25], v[24:25], v[44:45]
	v_fma_f64 v[50:51], v[50:51], -0.5, v[26:27]
	v_add_f64 v[26:27], v[26:27], v[46:47]
	v_add_f64 v[46:47], v[46:47], -v[54:55]
	v_add_f64 v[24:25], v[24:25], v[52:53]
	v_add_f64 v[52:53], v[44:45], -v[52:53]
	v_add_f64 v[26:27], v[26:27], v[54:55]
	v_fma_f64 v[44:45], v[46:47], s[0:1], v[48:49]
	v_fma_f64 v[48:49], v[46:47], s[4:5], v[48:49]
	;; [unrolled: 1-line block ×4, first 2 shown]
	v_add_f64 v[52:53], v[64:65], v[56:57]
	v_fma_f64 v[54:55], v[52:53], -0.5, v[28:29]
	v_add_f64 v[52:53], v[66:67], v[58:59]
	v_add_f64 v[28:29], v[28:29], v[64:65]
	v_fma_f64 v[60:61], v[52:53], -0.5, v[30:31]
	v_add_f64 v[30:31], v[30:31], v[66:67]
	v_add_f64 v[28:29], v[28:29], v[56:57]
	v_fma_f64 v[52:53], v[62:63], s[0:1], v[54:55]
	v_add_f64 v[30:31], v[30:31], v[58:59]
	v_add_f64 v[58:59], v[64:65], -v[56:57]
	v_fma_f64 v[56:57], v[62:63], s[4:5], v[54:55]
	v_fma_f64 v[54:55], v[58:59], s[4:5], v[60:61]
	;; [unrolled: 1-line block ×3, first 2 shown]
	buffer_load_dword v60, off, s[28:31], 0 offset:564 ; 4-byte Folded Reload
	s_waitcnt vmcnt(0)
	ds_write_b128 v60, v[4:7]
	ds_write_b128 v60, v[8:11] offset:256
	ds_write_b128 v60, v[12:15] offset:512
	buffer_load_dword v4, off, s[28:31], 0 offset:560 ; 4-byte Folded Reload
	s_waitcnt vmcnt(0)
	ds_write_b128 v4, v[0:3]
	ds_write_b128 v4, v[16:19] offset:256
	ds_write_b128 v4, v[32:35] offset:512
	;; [unrolled: 5-line block ×5, first 2 shown]
	s_waitcnt lgkmcnt(0)
	s_barrier
	buffer_gl0_inv
	ds_read_b128 v[0:3], v128 offset:5376
	ds_read_b128 v[4:7], v128 offset:10752
	;; [unrolled: 1-line block ×12, first 2 shown]
	s_waitcnt lgkmcnt(11)
	v_mul_f64 v[48:49], v[114:115], v[2:3]
	v_mul_f64 v[50:51], v[114:115], v[0:1]
	s_waitcnt lgkmcnt(10)
	v_mul_f64 v[54:55], v[118:119], v[4:5]
	s_waitcnt lgkmcnt(9)
	;; [unrolled: 2-line block ×3, first 2 shown]
	v_mul_f64 v[62:63], v[122:123], v[12:13]
	v_mul_f64 v[52:53], v[118:119], v[6:7]
	;; [unrolled: 1-line block ×4, first 2 shown]
	s_waitcnt lgkmcnt(7)
	v_mul_f64 v[64:65], v[86:87], v[18:19]
	v_mul_f64 v[66:67], v[86:87], v[16:17]
	s_waitcnt lgkmcnt(6)
	v_mul_f64 v[70:71], v[134:135], v[20:21]
	s_waitcnt lgkmcnt(5)
	v_mul_f64 v[72:73], v[142:143], v[26:27]
	v_mul_f64 v[74:75], v[142:143], v[24:25]
	s_waitcnt lgkmcnt(4)
	v_mul_f64 v[76:77], v[138:139], v[30:31]
	;; [unrolled: 3-line block ×4, first 2 shown]
	v_mul_f64 v[88:89], v[150:151], v[40:41]
	v_mul_f64 v[92:93], v[158:159], v[36:37]
	s_waitcnt lgkmcnt(0)
	v_mul_f64 v[96:97], v[154:155], v[44:45]
	v_mul_f64 v[68:69], v[134:135], v[22:23]
	v_fma_f64 v[48:49], v[112:113], v[0:1], v[48:49]
	v_fma_f64 v[50:51], v[112:113], v[2:3], -v[50:51]
	v_fma_f64 v[54:55], v[116:117], v[6:7], -v[54:55]
	;; [unrolled: 1-line block ×4, first 2 shown]
	v_fma_f64 v[52:53], v[116:117], v[4:5], v[52:53]
	ds_read_b128 v[0:3], v128
	ds_read_b128 v[4:7], v128 offset:896
	v_fma_f64 v[56:57], v[124:125], v[8:9], v[56:57]
	v_mul_f64 v[90:91], v[158:159], v[38:39]
	v_fma_f64 v[60:61], v[120:121], v[12:13], v[60:61]
	v_mul_f64 v[94:95], v[154:155], v[46:47]
	v_fma_f64 v[64:65], v[84:85], v[16:17], v[64:65]
	v_fma_f64 v[66:67], v[84:85], v[18:19], -v[66:67]
	v_fma_f64 v[70:71], v[132:133], v[22:23], -v[70:71]
	v_fma_f64 v[24:25], v[140:141], v[24:25], v[72:73]
	v_fma_f64 v[26:27], v[140:141], v[26:27], -v[74:75]
	v_fma_f64 v[28:29], v[136:137], v[28:29], v[76:77]
	;; [unrolled: 2-line block ×4, first 2 shown]
	v_fma_f64 v[42:43], v[148:149], v[42:43], -v[88:89]
	v_fma_f64 v[38:39], v[156:157], v[38:39], -v[92:93]
	v_fma_f64 v[46:47], v[152:153], v[46:47], -v[96:97]
	v_add_f64 v[80:81], v[50:51], -v[54:55]
	s_waitcnt lgkmcnt(1)
	v_add_f64 v[72:73], v[0:1], v[48:49]
	v_add_f64 v[76:77], v[2:3], v[50:51]
	;; [unrolled: 1-line block ×3, first 2 shown]
	v_add_f64 v[84:85], v[58:59], -v[62:63]
	s_waitcnt lgkmcnt(0)
	v_add_f64 v[86:87], v[6:7], v[58:59]
	v_add_f64 v[58:59], v[58:59], v[62:63]
	v_fma_f64 v[68:69], v[132:133], v[20:21], v[68:69]
	ds_read_b128 v[8:11], v128 offset:1792
	ds_read_b128 v[12:15], v128 offset:2688
	;; [unrolled: 1-line block ×4, first 2 shown]
	v_fma_f64 v[36:37], v[156:157], v[36:37], v[90:91]
	v_fma_f64 v[44:45], v[152:153], v[44:45], v[94:95]
	v_add_f64 v[74:75], v[48:49], v[52:53]
	v_add_f64 v[48:49], v[48:49], -v[52:53]
	v_add_f64 v[78:79], v[4:5], v[56:57]
	v_add_f64 v[82:83], v[56:57], v[60:61]
	v_add_f64 v[56:57], v[56:57], -v[60:61]
	v_add_f64 v[92:93], v[66:67], -v[70:71]
	v_add_f64 v[98:99], v[24:25], v[28:29]
	v_add_f64 v[100:101], v[26:27], -v[30:31]
	v_add_f64 v[104:105], v[26:27], v[30:31]
	;; [unrolled: 2-line block ×3, first 2 shown]
	v_add_f64 v[122:123], v[38:39], -v[46:47]
	s_waitcnt lgkmcnt(0)
	s_barrier
	buffer_gl0_inv
	v_add_f64 v[88:89], v[8:9], v[64:65]
	v_add_f64 v[94:95], v[10:11], v[66:67]
	;; [unrolled: 1-line block ×10, first 2 shown]
	v_add_f64 v[72:73], v[34:35], -v[42:43]
	v_fma_f64 v[34:35], v[50:51], -0.5, v[2:3]
	v_fma_f64 v[38:39], v[58:59], -0.5, v[6:7]
	v_add_f64 v[90:91], v[64:65], v[68:69]
	v_add_f64 v[64:65], v[64:65], -v[68:69]
	v_add_f64 v[116:117], v[20:21], v[36:37]
	v_add_f64 v[118:119], v[36:37], v[44:45]
	v_add_f64 v[124:125], v[36:37], -v[44:45]
	v_add_f64 v[2:3], v[86:87], v[62:63]
	v_fma_f64 v[36:37], v[82:83], -0.5, v[4:5]
	v_add_f64 v[108:109], v[16:17], v[32:33]
	v_add_f64 v[110:111], v[32:33], v[40:41]
	;; [unrolled: 1-line block ×3, first 2 shown]
	v_fma_f64 v[68:69], v[114:115], -0.5, v[18:19]
	v_fma_f64 v[58:59], v[66:67], -0.5, v[10:11]
	v_add_f64 v[120:121], v[32:33], -v[40:41]
	v_add_f64 v[10:11], v[102:103], v[30:31]
	v_fma_f64 v[32:33], v[74:75], -0.5, v[0:1]
	v_add_f64 v[6:7], v[94:95], v[70:71]
	v_add_f64 v[0:1], v[78:79], v[60:61]
	v_fma_f64 v[60:61], v[98:99], -0.5, v[12:13]
	v_fma_f64 v[86:87], v[54:55], -0.5, v[22:23]
	;; [unrolled: 1-line block ×3, first 2 shown]
	v_fma_f64 v[18:19], v[48:49], s[4:5], v[34:35]
	v_fma_f64 v[22:23], v[48:49], s[0:1], v[34:35]
	;; [unrolled: 1-line block ×4, first 2 shown]
	buffer_load_dword v56, off, s[28:31], 0 offset:568 ; 4-byte Folded Reload
	v_fma_f64 v[70:71], v[118:119], -0.5, v[20:21]
	v_fma_f64 v[50:51], v[90:91], -0.5, v[8:9]
	v_add_f64 v[8:9], v[96:97], v[28:29]
	v_fma_f64 v[28:29], v[84:85], s[0:1], v[36:37]
	v_add_f64 v[12:13], v[108:109], v[40:41]
	v_fma_f64 v[66:67], v[110:111], -0.5, v[16:17]
	v_add_f64 v[14:15], v[112:113], v[42:43]
	v_add_f64 v[76:77], v[116:117], v[44:45]
	v_fma_f64 v[38:39], v[64:65], s[4:5], v[58:59]
	v_fma_f64 v[42:43], v[64:65], s[0:1], v[58:59]
	v_add_f64 v[78:79], v[52:53], v[46:47]
	v_fma_f64 v[16:17], v[80:81], s[0:1], v[32:33]
	v_fma_f64 v[20:21], v[80:81], s[4:5], v[32:33]
	v_fma_f64 v[32:33], v[84:85], s[4:5], v[36:37]
	v_fma_f64 v[44:45], v[100:101], s[0:1], v[60:61]
	v_fma_f64 v[48:49], v[100:101], s[4:5], v[60:61]
	v_fma_f64 v[46:47], v[106:107], s[4:5], v[62:63]
	v_fma_f64 v[54:55], v[120:121], s[4:5], v[68:69]
	v_fma_f64 v[74:75], v[120:121], s[0:1], v[68:69]
	v_fma_f64 v[82:83], v[124:125], s[4:5], v[86:87]
	v_fma_f64 v[86:87], v[124:125], s[0:1], v[86:87]
	s_waitcnt vmcnt(0)
	ds_write_b128 v56, v[24:27]
	ds_write_b128 v56, v[16:19] offset:768
	ds_write_b128 v56, v[20:23] offset:1536
	buffer_load_dword v16, off, s[28:31], 0 offset:572 ; 4-byte Folded Reload
	v_fma_f64 v[36:37], v[92:93], s[0:1], v[50:51]
	v_fma_f64 v[40:41], v[92:93], s[4:5], v[50:51]
	;; [unrolled: 1-line block ×7, first 2 shown]
	s_waitcnt vmcnt(0)
	ds_write_b128 v16, v[0:3]
	ds_write_b128 v16, v[28:31] offset:768
	ds_write_b128 v16, v[32:35] offset:1536
	buffer_load_dword v0, off, s[28:31], 0 offset:576 ; 4-byte Folded Reload
	s_waitcnt vmcnt(0)
	ds_write_b128 v0, v[4:7]
	ds_write_b128 v0, v[36:39] offset:768
	ds_write_b128 v0, v[40:43] offset:1536
	buffer_load_dword v0, off, s[28:31], 0 offset:580 ; 4-byte Folded Reload
	;; [unrolled: 5-line block ×4, first 2 shown]
	s_waitcnt vmcnt(0)
	ds_write_b128 v0, v[76:79]
	ds_write_b128 v0, v[80:83] offset:768
	ds_write_b128 v0, v[84:87] offset:1536
	s_waitcnt lgkmcnt(0)
	s_barrier
	buffer_gl0_inv
	ds_read_b128 v[4:7], v128
	ds_read_b128 v[0:3], v128 offset:896
	ds_read_b128 v[112:115], v128 offset:2304
	;; [unrolled: 1-line block ×13, first 2 shown]
	s_and_saveexec_b32 s0, vcc_lo
	s_cbranch_execz .LBB0_7
; %bb.6:
	ds_read_b128 v[72:75], v128 offset:1792
	ds_read_b128 v[76:79], v128 offset:4096
	;; [unrolled: 1-line block ×7, first 2 shown]
.LBB0_7:
	s_or_b32 exec_lo, exec_lo, s0
	s_waitcnt lgkmcnt(11)
	v_mul_f64 v[16:17], v[162:163], v[114:115]
	s_waitcnt lgkmcnt(9)
	v_mul_f64 v[20:21], v[222:223], v[118:119]
	;; [unrolled: 2-line block ×3, first 2 shown]
	v_mul_f64 v[28:29], v[226:227], v[122:123]
	v_mul_f64 v[32:33], v[194:195], v[106:107]
	;; [unrolled: 1-line block ×15, first 2 shown]
	s_waitcnt lgkmcnt(0)
	v_mul_f64 v[60:61], v[218:219], v[102:103]
	v_mul_f64 v[62:63], v[218:219], v[100:101]
	;; [unrolled: 1-line block ×4, first 2 shown]
	v_fma_f64 v[16:17], v[160:161], v[112:113], v[16:17]
	v_fma_f64 v[20:21], v[220:221], v[116:117], v[20:21]
	;; [unrolled: 1-line block ×6, first 2 shown]
	v_fma_f64 v[18:19], v[160:161], v[114:115], -v[18:19]
	v_fma_f64 v[22:23], v[220:221], v[118:119], -v[22:23]
	;; [unrolled: 1-line block ×4, first 2 shown]
	v_mul_f64 v[52:53], v[202:203], v[14:15]
	v_mul_f64 v[54:55], v[202:203], v[12:13]
	v_fma_f64 v[34:35], v[192:193], v[106:107], -v[34:35]
	v_fma_f64 v[38:39], v[196:197], v[110:111], -v[38:39]
	v_fma_f64 v[40:41], v[188:189], v[92:93], v[40:41]
	v_fma_f64 v[42:43], v[188:189], v[94:95], -v[42:43]
	v_fma_f64 v[44:45], v[208:209], v[88:89], v[44:45]
	;; [unrolled: 2-line block ×5, first 2 shown]
	v_fma_f64 v[10:11], v[204:205], v[10:11], -v[50:51]
	v_add_f64 v[64:65], v[16:17], v[24:25]
	v_add_f64 v[68:69], v[20:21], v[28:29]
	v_add_f64 v[20:21], v[20:21], -v[28:29]
	v_add_f64 v[88:89], v[32:33], v[36:37]
	v_add_f64 v[28:29], v[36:37], -v[32:33]
	v_add_f64 v[16:17], v[16:17], -v[24:25]
	v_add_f64 v[66:67], v[18:19], v[26:27]
	v_add_f64 v[70:71], v[22:23], v[30:31]
	v_fma_f64 v[12:13], v[200:201], v[12:13], v[52:53]
	v_fma_f64 v[14:15], v[200:201], v[14:15], -v[54:55]
	v_add_f64 v[22:23], v[22:23], -v[30:31]
	v_add_f64 v[90:91], v[34:35], v[38:39]
	v_add_f64 v[30:31], v[38:39], -v[34:35]
	v_add_f64 v[18:19], v[18:19], -v[26:27]
	s_mov_b32 s6, 0x37e14327
	s_mov_b32 s0, 0x36b3c0b5
	v_add_f64 v[24:25], v[40:41], v[60:61]
	v_add_f64 v[26:27], v[42:43], v[62:63]
	;; [unrolled: 1-line block ×4, first 2 shown]
	v_add_f64 v[32:33], v[40:41], -v[60:61]
	s_mov_b32 s7, 0x3fe948f6
	s_mov_b32 s1, 0x3fac98ee
	v_add_f64 v[48:49], v[68:69], v[64:65]
	v_add_f64 v[34:35], v[42:43], -v[62:63]
	v_add_f64 v[40:41], v[64:65], -v[88:89]
	;; [unrolled: 1-line block ×5, first 2 shown]
	v_add_f64 v[92:93], v[70:71], v[66:67]
	v_add_f64 v[56:57], v[8:9], v[12:13]
	v_add_f64 v[58:59], v[10:11], v[14:15]
	v_add_f64 v[8:9], v[12:13], -v[8:9]
	v_add_f64 v[42:43], v[66:67], -v[90:91]
	;; [unrolled: 1-line block ×8, first 2 shown]
	v_add_f64 v[68:69], v[36:37], v[24:25]
	v_add_f64 v[70:71], v[38:39], v[26:27]
	v_add_f64 v[64:65], v[28:29], v[20:21]
	v_add_f64 v[66:67], v[30:31], v[22:23]
	v_add_f64 v[20:21], v[20:21], -v[16:17]
	v_add_f64 v[48:49], v[88:89], v[48:49]
	v_add_f64 v[22:23], v[22:23], -v[18:19]
	v_mul_f64 v[40:41], v[40:41], s[6:7]
	v_mul_f64 v[88:89], v[50:51], s[0:1]
	s_mov_b32 s16, 0xe976ee23
	s_mov_b32 s17, 0x3fe11646
	v_add_f64 v[54:55], v[90:91], v[92:93]
	s_mov_b32 s19, 0xbfe77f67
	s_mov_b32 s18, s14
	v_add_f64 v[28:29], v[16:17], -v[28:29]
	v_mul_f64 v[42:43], v[42:43], s[6:7]
	v_mul_f64 v[90:91], v[52:53], s[0:1]
	v_add_f64 v[92:93], v[24:25], -v[56:57]
	v_add_f64 v[94:95], v[26:27], -v[58:59]
	;; [unrolled: 1-line block ×4, first 2 shown]
	v_mul_f64 v[12:13], v[12:13], s[16:17]
	v_add_f64 v[100:101], v[8:9], -v[44:45]
	v_add_f64 v[102:103], v[10:11], -v[46:47]
	v_add_f64 v[56:57], v[56:57], v[68:69]
	v_add_f64 v[58:59], v[58:59], v[70:71]
	s_mov_b32 s4, 0x429ad128
	v_add_f64 v[4:5], v[4:5], v[48:49]
	s_mov_b32 s5, 0xbfebfeb5
	v_fma_f64 v[50:51], v[50:51], s[0:1], v[40:41]
	v_fma_f64 v[68:69], v[60:61], s[14:15], -v[88:89]
	v_fma_f64 v[40:41], v[60:61], s[18:19], -v[40:41]
	v_add_f64 v[60:61], v[44:45], -v[32:33]
	v_add_f64 v[88:89], v[46:47], -v[34:35]
	v_add_f64 v[6:7], v[6:7], v[54:55]
	v_add_f64 v[30:31], v[18:19], -v[30:31]
	v_mul_f64 v[14:15], v[14:15], s[16:17]
	v_add_f64 v[16:17], v[64:65], v[16:17]
	v_add_f64 v[18:19], v[66:67], v[18:19]
	v_mul_f64 v[64:65], v[20:21], s[4:5]
	v_mul_f64 v[66:67], v[22:23], s[4:5]
	s_mov_b32 s20, 0xb247c609
	s_mov_b32 s21, 0xbfd5d0dc
	;; [unrolled: 1-line block ×4, first 2 shown]
	v_fma_f64 v[52:53], v[52:53], s[0:1], v[42:43]
	v_fma_f64 v[70:71], v[62:63], s[14:15], -v[90:91]
	v_fma_f64 v[42:43], v[62:63], s[18:19], -v[42:43]
	v_fma_f64 v[62:63], v[28:29], s[20:21], v[12:13]
	v_fma_f64 v[12:13], v[20:21], s[4:5], -v[12:13]
	v_add_f64 v[20:21], v[36:37], -v[24:25]
	v_add_f64 v[24:25], v[38:39], -v[26:27]
	v_add_f64 v[26:27], v[8:9], v[44:45]
	v_add_f64 v[36:37], v[10:11], v[46:47]
	;; [unrolled: 1-line block ×4, first 2 shown]
	v_mul_f64 v[38:39], v[92:93], s[6:7]
	v_mul_f64 v[44:45], v[94:95], s[6:7]
	;; [unrolled: 1-line block ×4, first 2 shown]
	v_add_f64 v[8:9], v[32:33], -v[8:9]
	v_add_f64 v[10:11], v[34:35], -v[10:11]
	v_mul_f64 v[94:95], v[102:103], s[16:17]
	v_mul_f64 v[100:101], v[100:101], s[16:17]
	;; [unrolled: 1-line block ×4, first 2 shown]
	v_fma_f64 v[48:49], v[48:49], s[12:13], v[4:5]
	v_fma_f64 v[54:55], v[54:55], s[12:13], v[6:7]
	s_mov_b32 s23, 0x3fd5d0dc
	s_mov_b32 s22, s20
	v_fma_f64 v[90:91], v[30:31], s[20:21], v[14:15]
	v_fma_f64 v[14:15], v[22:23], s[4:5], -v[14:15]
	v_fma_f64 v[22:23], v[28:29], s[22:23], -v[64:65]
	;; [unrolled: 1-line block ×3, first 2 shown]
	v_add_f64 v[26:27], v[26:27], v[32:33]
	v_add_f64 v[32:33], v[36:37], v[34:35]
	v_fma_f64 v[34:35], v[56:57], s[12:13], v[0:1]
	v_fma_f64 v[36:37], v[58:59], s[12:13], v[2:3]
	v_fma_f64 v[56:57], v[96:97], s[0:1], v[38:39]
	v_fma_f64 v[58:59], v[98:99], s[0:1], v[44:45]
	v_fma_f64 v[46:47], v[20:21], s[14:15], -v[46:47]
	v_fma_f64 v[66:67], v[24:25], s[14:15], -v[92:93]
	;; [unrolled: 1-line block ×4, first 2 shown]
	v_fma_f64 v[38:39], v[10:11], s[20:21], v[94:95]
	v_fma_f64 v[44:45], v[8:9], s[20:21], v[100:101]
	v_fma_f64 v[10:11], v[10:11], s[22:23], -v[102:103]
	v_fma_f64 v[8:9], v[8:9], s[22:23], -v[104:105]
	v_add_f64 v[30:31], v[50:51], v[48:49]
	v_add_f64 v[50:51], v[52:53], v[54:55]
	;; [unrolled: 1-line block ×3, first 2 shown]
	v_fma_f64 v[68:69], v[88:89], s[4:5], -v[94:95]
	v_fma_f64 v[60:61], v[60:61], s[4:5], -v[100:101]
	s_mov_b32 s24, 0x37c3f68c
	s_mov_b32 s25, 0xbfdc38aa
	v_add_f64 v[64:65], v[70:71], v[54:55]
	v_add_f64 v[40:41], v[40:41], v[48:49]
	;; [unrolled: 1-line block ×3, first 2 shown]
	v_fma_f64 v[48:49], v[18:19], s[24:25], v[90:91]
	v_fma_f64 v[54:55], v[16:17], s[24:25], v[62:63]
	;; [unrolled: 1-line block ×6, first 2 shown]
	v_add_f64 v[56:57], v[56:57], v[34:35]
	v_add_f64 v[58:59], v[58:59], v[36:37]
	v_fma_f64 v[92:93], v[32:33], s[24:25], v[38:39]
	v_fma_f64 v[94:95], v[26:27], s[24:25], v[44:45]
	v_add_f64 v[88:89], v[20:21], v[34:35]
	v_add_f64 v[90:91], v[24:25], v[36:37]
	v_fma_f64 v[96:97], v[32:33], s[24:25], v[10:11]
	v_fma_f64 v[98:99], v[26:27], s[24:25], v[8:9]
	;; [unrolled: 4-line block ×3, first 2 shown]
	v_add_f64 v[8:9], v[48:49], v[30:31]
	v_add_f64 v[10:11], v[50:51], -v[54:55]
	v_add_f64 v[12:13], v[28:29], v[40:41]
	v_add_f64 v[14:15], v[42:43], -v[62:63]
	v_add_f64 v[16:17], v[52:53], -v[22:23]
	v_add_f64 v[18:19], v[70:71], v[64:65]
	v_add_f64 v[20:21], v[22:23], v[52:53]
	v_add_f64 v[22:23], v[64:65], -v[70:71]
	v_add_f64 v[24:25], v[40:41], -v[28:29]
	v_add_f64 v[26:27], v[62:63], v[42:43]
	v_add_f64 v[28:29], v[30:31], -v[48:49]
	v_add_f64 v[30:31], v[54:55], v[50:51]
	v_add_f64 v[32:33], v[92:93], v[56:57]
	v_add_f64 v[34:35], v[58:59], -v[94:95]
	v_add_f64 v[36:37], v[96:97], v[88:89]
	v_add_f64 v[38:39], v[90:91], -v[98:99]
	v_add_f64 v[40:41], v[46:47], -v[44:45]
	v_add_f64 v[42:43], v[60:61], v[66:67]
	v_add_f64 v[44:45], v[44:45], v[46:47]
	v_add_f64 v[46:47], v[66:67], -v[60:61]
	v_add_f64 v[48:49], v[88:89], -v[96:97]
	v_add_f64 v[50:51], v[98:99], v[90:91]
	v_add_f64 v[52:53], v[56:57], -v[92:93]
	v_add_f64 v[54:55], v[94:95], v[58:59]
	ds_write_b128 v128, v[4:7]
	ds_write_b128 v128, v[8:11] offset:2304
	ds_write_b128 v128, v[12:15] offset:4608
	;; [unrolled: 1-line block ×13, first 2 shown]
	s_and_saveexec_b32 s26, vcc_lo
	s_cbranch_execz .LBB0_9
; %bb.8:
	s_clause 0xf
	buffer_load_dword v42, off, s[28:31], 0 offset:676
	buffer_load_dword v43, off, s[28:31], 0 offset:680
	;; [unrolled: 1-line block ×16, first 2 shown]
	s_waitcnt vmcnt(12)
	v_mul_f64 v[0:1], v[44:45], v[240:241]
	s_waitcnt vmcnt(8)
	v_mul_f64 v[2:3], v[26:27], v[76:77]
	v_mul_f64 v[8:9], v[26:27], v[78:79]
	s_clause 0x7
	buffer_load_dword v26, off, s[28:31], 0 offset:612
	buffer_load_dword v27, off, s[28:31], 0 offset:616
	;; [unrolled: 1-line block ×8, first 2 shown]
	s_waitcnt vmcnt(12)
	v_mul_f64 v[4:5], v[40:41], v[236:237]
	s_waitcnt vmcnt(8)
	v_mul_f64 v[6:7], v[36:37], v[80:81]
	v_mul_f64 v[10:11], v[44:45], v[242:243]
	v_mul_f64 v[12:13], v[36:37], v[82:83]
	v_mul_f64 v[14:15], v[40:41], v[238:239]
	v_fma_f64 v[0:1], v[42:43], v[242:243], -v[0:1]
	v_fma_f64 v[2:3], v[24:25], v[78:79], -v[2:3]
	v_fma_f64 v[8:9], v[24:25], v[76:77], v[8:9]
	v_fma_f64 v[4:5], v[38:39], v[238:239], -v[4:5]
	v_fma_f64 v[6:7], v[34:35], v[82:83], -v[6:7]
	v_fma_f64 v[10:11], v[42:43], v[240:241], v[10:11]
	v_fma_f64 v[12:13], v[34:35], v[80:81], v[12:13]
	;; [unrolled: 1-line block ×3, first 2 shown]
	v_add_f64 v[24:25], v[2:3], v[0:1]
	s_waitcnt vmcnt(4)
	v_mul_f64 v[16:17], v[28:29], v[234:235]
	s_waitcnt vmcnt(0)
	v_mul_f64 v[18:19], v[32:33], v[86:87]
	v_mul_f64 v[20:21], v[32:33], v[84:85]
	;; [unrolled: 1-line block ×3, first 2 shown]
	v_add_f64 v[28:29], v[8:9], v[10:11]
	v_add_f64 v[8:9], v[8:9], -v[10:11]
	v_fma_f64 v[16:17], v[26:27], v[232:233], v[16:17]
	v_fma_f64 v[18:19], v[30:31], v[84:85], v[18:19]
	v_fma_f64 v[20:21], v[30:31], v[86:87], -v[20:21]
	v_fma_f64 v[22:23], v[26:27], v[234:235], -v[22:23]
	v_add_f64 v[26:27], v[6:7], v[4:5]
	v_add_f64 v[30:31], v[12:13], v[14:15]
	v_add_f64 v[12:13], v[12:13], -v[14:15]
	v_add_f64 v[4:5], v[6:7], -v[4:5]
	;; [unrolled: 1-line block ×4, first 2 shown]
	v_add_f64 v[16:17], v[18:19], v[16:17]
	v_add_f64 v[14:15], v[20:21], v[22:23]
	;; [unrolled: 1-line block ×3, first 2 shown]
	v_add_f64 v[18:19], v[22:23], -v[20:21]
	v_add_f64 v[0:1], v[30:31], v[28:29]
	v_add_f64 v[34:35], v[12:13], -v[8:9]
	v_add_f64 v[38:39], v[4:5], -v[6:7]
	;; [unrolled: 1-line block ×5, first 2 shown]
	v_add_f64 v[10:11], v[14:15], v[10:11]
	v_add_f64 v[14:15], v[14:15], -v[26:27]
	v_add_f64 v[36:37], v[18:19], -v[4:5]
	v_add_f64 v[40:41], v[16:17], v[0:1]
	v_add_f64 v[16:17], v[16:17], -v[30:31]
	v_add_f64 v[42:43], v[8:9], -v[32:33]
	v_add_f64 v[12:13], v[32:33], v[12:13]
	v_add_f64 v[4:5], v[18:19], v[4:5]
	v_mul_f64 v[44:45], v[34:35], s[4:5]
	v_add_f64 v[18:19], v[6:7], -v[18:19]
	v_add_f64 v[24:25], v[26:27], -v[24:25]
	v_mul_f64 v[46:47], v[38:39], s[4:5]
	v_add_f64 v[28:29], v[30:31], -v[28:29]
	v_mul_f64 v[32:33], v[2:3], s[16:17]
	v_mul_f64 v[22:23], v[22:23], s[6:7]
	;; [unrolled: 1-line block ×3, first 2 shown]
	v_add_f64 v[2:3], v[74:75], v[10:11]
	v_mul_f64 v[26:27], v[14:15], s[0:1]
	v_mul_f64 v[36:37], v[36:37], s[16:17]
	v_add_f64 v[0:1], v[72:73], v[40:41]
	v_mul_f64 v[30:31], v[16:17], s[0:1]
	v_add_f64 v[8:9], v[12:13], v[8:9]
	v_add_f64 v[4:5], v[4:5], v[6:7]
	v_fma_f64 v[6:7], v[42:43], s[20:21], v[32:33]
	v_fma_f64 v[32:33], v[34:35], s[4:5], -v[32:33]
	v_fma_f64 v[12:13], v[14:15], s[0:1], v[20:21]
	v_fma_f64 v[14:15], v[16:17], s[0:1], v[22:23]
	v_fma_f64 v[16:17], v[42:43], s[22:23], -v[44:45]
	v_fma_f64 v[10:11], v[10:11], s[12:13], v[2:3]
	v_fma_f64 v[20:21], v[24:25], s[18:19], -v[20:21]
	v_fma_f64 v[24:25], v[24:25], s[14:15], -v[26:27]
	v_fma_f64 v[26:27], v[18:19], s[20:21], v[36:37]
	v_fma_f64 v[18:19], v[18:19], s[22:23], -v[46:47]
	;; [unrolled: 3-line block ×3, first 2 shown]
	v_fma_f64 v[28:29], v[28:29], s[14:15], -v[30:31]
	v_fma_f64 v[30:31], v[8:9], s[24:25], v[6:7]
	v_fma_f64 v[16:17], v[8:9], s[24:25], v[16:17]
	;; [unrolled: 1-line block ×3, first 2 shown]
	v_add_f64 v[12:13], v[12:13], v[10:11]
	v_add_f64 v[24:25], v[24:25], v[10:11]
	v_fma_f64 v[32:33], v[4:5], s[24:25], v[26:27]
	v_fma_f64 v[38:39], v[4:5], s[24:25], v[18:19]
	;; [unrolled: 1-line block ×3, first 2 shown]
	v_add_f64 v[34:35], v[14:15], v[36:37]
	v_add_f64 v[20:21], v[20:21], v[10:11]
	;; [unrolled: 1-line block ×4, first 2 shown]
	v_add_f64 v[26:27], v[12:13], -v[30:31]
	v_add_f64 v[14:15], v[24:25], -v[8:9]
	v_add_f64 v[18:19], v[8:9], v[24:25]
	v_add_f64 v[6:7], v[30:31], v[12:13]
	;; [unrolled: 1-line block ×4, first 2 shown]
	v_add_f64 v[22:23], v[20:21], -v[16:17]
	v_add_f64 v[20:21], v[38:39], v[40:41]
	v_add_f64 v[16:17], v[28:29], -v[4:5]
	v_add_f64 v[12:13], v[4:5], v[28:29]
	v_add_f64 v[8:9], v[40:41], -v[38:39]
	v_add_f64 v[4:5], v[34:35], -v[32:33]
	ds_write_b128 v128, v[0:3] offset:1792
	ds_write_b128 v128, v[24:27] offset:4096
	ds_write_b128 v128, v[20:23] offset:6400
	ds_write_b128 v128, v[16:19] offset:8704
	ds_write_b128 v128, v[12:15] offset:11008
	ds_write_b128 v128, v[8:11] offset:13312
	ds_write_b128 v128, v[4:7] offset:15616
.LBB0_9:
	s_or_b32 exec_lo, exec_lo, s26
	s_waitcnt lgkmcnt(0)
	s_barrier
	buffer_gl0_inv
	ds_read_b128 v[0:3], v128
	s_clause 0x1
	buffer_load_dword v4, off, s[28:31], 0
	buffer_load_dword v5, off, s[28:31], 0 offset:4
	v_mad_u64_u32 v[46:47], null, s8, v129, 0
	s_mov_b32 s0, 0x10410410
	s_mov_b32 s1, 0x3f504104
	s_mul_i32 s6, s9, 0x1f80
	s_mul_hi_u32 s7, s8, 0x1f80
	s_mul_i32 s4, s8, 0x1f80
	s_add_i32 s7, s7, s6
	s_mul_hi_u32 s12, s8, 0xffffe400
	s_mul_i32 s5, s8, 0xffffe400
	s_sub_i32 s6, s12, s8
	ds_read_b128 v[8:11], v128 offset:896
	s_waitcnt vmcnt(1)
	v_mov_b32_e32 v60, v4
	s_waitcnt vmcnt(0)
	ds_read_b128 v[4:7], v128 offset:8064
	s_clause 0x3
	buffer_load_dword v61, off, s[28:31], 0 offset:48
	buffer_load_dword v62, off, s[28:31], 0 offset:52
	;; [unrolled: 1-line block ×4, first 2 shown]
	ds_read_b128 v[12:15], v128 offset:8960
	ds_read_b128 v[16:19], v128 offset:9856
	;; [unrolled: 1-line block ×8, first 2 shown]
	s_clause 0x3
	buffer_load_dword v70, off, s[28:31], 0 offset:64
	buffer_load_dword v71, off, s[28:31], 0 offset:68
	;; [unrolled: 1-line block ×4, first 2 shown]
	v_mad_u64_u32 v[44:45], null, s10, v60, 0
	s_mul_i32 s10, s9, 0xffffe400
	s_add_i32 s6, s6, s10
	s_waitcnt vmcnt(4) lgkmcnt(10)
	v_mul_f64 v[48:49], v[63:64], v[2:3]
	v_mul_f64 v[50:51], v[63:64], v[0:1]
	s_waitcnt vmcnt(0) lgkmcnt(8)
	v_mul_f64 v[52:53], v[72:73], v[6:7]
	v_mul_f64 v[54:55], v[72:73], v[4:5]
	s_clause 0x3
	buffer_load_dword v72, off, s[28:31], 0 offset:80
	buffer_load_dword v73, off, s[28:31], 0 offset:84
	;; [unrolled: 1-line block ×4, first 2 shown]
	v_fma_f64 v[0:1], v[61:62], v[0:1], v[48:49]
	v_mad_u64_u32 v[48:49], null, s11, v60, v[45:46]
	v_fma_f64 v[2:3], v[61:62], v[2:3], -v[50:51]
	v_fma_f64 v[4:5], v[70:71], v[4:5], v[52:53]
	v_fma_f64 v[6:7], v[70:71], v[6:7], -v[54:55]
	v_mad_u64_u32 v[49:50], null, s9, v129, v[47:48]
	v_mov_b32_e32 v45, v48
	v_lshlrev_b64 v[44:45], 4, v[44:45]
	v_mov_b32_e32 v47, v49
	v_mul_f64 v[0:1], v[0:1], s[0:1]
	v_lshlrev_b64 v[46:47], 4, v[46:47]
	v_add_co_u32 v70, vcc_lo, s2, v44
	v_mul_f64 v[2:3], v[2:3], s[0:1]
	v_add_co_ci_u32_e32 v71, vcc_lo, s3, v45, vcc_lo
	v_add_co_u32 v44, vcc_lo, v70, v46
	v_mul_f64 v[4:5], v[4:5], s[0:1]
	v_add_co_ci_u32_e32 v45, vcc_lo, v71, v47, vcc_lo
	v_mul_f64 v[6:7], v[6:7], s[0:1]
	s_waitcnt vmcnt(0)
	v_mul_f64 v[56:57], v[74:75], v[10:11]
	v_mul_f64 v[58:59], v[74:75], v[8:9]
	s_clause 0x7
	buffer_load_dword v74, off, s[28:31], 0 offset:128
	buffer_load_dword v75, off, s[28:31], 0 offset:132
	;; [unrolled: 1-line block ×8, first 2 shown]
	v_fma_f64 v[8:9], v[72:73], v[8:9], v[56:57]
	v_fma_f64 v[10:11], v[72:73], v[10:11], -v[58:59]
	v_mul_f64 v[8:9], v[8:9], s[0:1]
	v_mul_f64 v[10:11], v[10:11], s[0:1]
	s_waitcnt vmcnt(4) lgkmcnt(7)
	v_mul_f64 v[50:51], v[76:77], v[14:15]
	v_mul_f64 v[60:61], v[76:77], v[12:13]
	s_clause 0x3
	buffer_load_dword v76, off, s[28:31], 0 offset:144
	buffer_load_dword v77, off, s[28:31], 0 offset:148
	;; [unrolled: 1-line block ×4, first 2 shown]
	s_waitcnt vmcnt(4) lgkmcnt(5)
	v_mul_f64 v[64:65], v[82:83], v[20:21]
	v_mul_f64 v[62:63], v[82:83], v[22:23]
	s_clause 0x3
	buffer_load_dword v82, off, s[28:31], 0 offset:208
	buffer_load_dword v83, off, s[28:31], 0 offset:212
	;; [unrolled: 1-line block ×4, first 2 shown]
	global_store_dwordx4 v[44:45], v[0:3], off
	v_fma_f64 v[12:13], v[74:75], v[12:13], v[50:51]
	v_fma_f64 v[14:15], v[74:75], v[14:15], -v[60:61]
	v_add_co_u32 v50, vcc_lo, v44, s4
	v_fma_f64 v[22:23], v[80:81], v[22:23], -v[64:65]
	v_fma_f64 v[20:21], v[80:81], v[20:21], v[62:63]
	v_add_co_ci_u32_e32 v51, vcc_lo, s7, v45, vcc_lo
	v_add_co_u32 v44, vcc_lo, v50, s5
	v_add_co_ci_u32_e32 v45, vcc_lo, s6, v51, vcc_lo
	v_add_co_u32 v54, vcc_lo, v44, s4
	;; [unrolled: 2-line block ×3, first 2 shown]
	v_add_co_ci_u32_e32 v63, vcc_lo, s6, v55, vcc_lo
	v_mul_f64 v[2:3], v[14:15], s[0:1]
	v_mul_f64 v[0:1], v[12:13], s[0:1]
	;; [unrolled: 1-line block ×4, first 2 shown]
	s_waitcnt vmcnt(4)
	v_mul_f64 v[66:67], v[78:79], v[16:17]
	v_mul_f64 v[48:49], v[78:79], v[18:19]
	s_waitcnt vmcnt(0) lgkmcnt(4)
	v_mul_f64 v[68:69], v[84:85], v[26:27]
	v_mul_f64 v[46:47], v[84:85], v[24:25]
	v_fma_f64 v[22:23], v[76:77], v[18:19], -v[66:67]
	s_clause 0x3
	buffer_load_dword v64, off, s[28:31], 0 offset:176
	buffer_load_dword v65, off, s[28:31], 0 offset:180
	;; [unrolled: 1-line block ×4, first 2 shown]
	v_fma_f64 v[20:21], v[76:77], v[16:17], v[48:49]
	v_fma_f64 v[24:25], v[82:83], v[24:25], v[68:69]
	ds_read_b128 v[16:19], v128 offset:4480
	v_fma_f64 v[26:27], v[82:83], v[26:27], -v[46:47]
	s_waitcnt vmcnt(0) lgkmcnt(3)
	v_mul_f64 v[48:49], v[66:67], v[34:35]
	v_mul_f64 v[52:53], v[66:67], v[32:33]
	s_clause 0x7
	buffer_load_dword v66, off, s[28:31], 0 offset:192
	buffer_load_dword v67, off, s[28:31], 0 offset:196
	;; [unrolled: 1-line block ×8, first 2 shown]
	global_store_dwordx4 v[50:51], v[4:7], off
	global_store_dwordx4 v[44:45], v[8:11], off
	;; [unrolled: 1-line block ×4, first 2 shown]
	ds_read_b128 v[0:3], v128 offset:12544
	ds_read_b128 v[8:11], v128 offset:5376
	v_mul_f64 v[4:5], v[20:21], s[0:1]
	v_mul_f64 v[6:7], v[22:23], s[0:1]
	;; [unrolled: 1-line block ×4, first 2 shown]
	v_add_co_u32 v44, vcc_lo, v62, s4
	v_add_co_ci_u32_e32 v45, vcc_lo, s7, v63, vcc_lo
	v_add_co_u32 v62, vcc_lo, v44, s5
	v_add_co_ci_u32_e32 v63, vcc_lo, s6, v45, vcc_lo
	v_fma_f64 v[32:33], v[64:65], v[32:33], v[48:49]
	v_fma_f64 v[34:35], v[64:65], v[34:35], -v[52:53]
	v_add_co_u32 v64, vcc_lo, v62, s4
	v_add_co_ci_u32_e32 v65, vcc_lo, s7, v63, vcc_lo
	s_waitcnt vmcnt(4)
	v_mul_f64 v[46:47], v[68:69], v[30:31]
	s_waitcnt vmcnt(0) lgkmcnt(4)
	v_mul_f64 v[58:59], v[74:75], v[38:39]
	v_mul_f64 v[60:61], v[74:75], v[36:37]
	;; [unrolled: 1-line block ×3, first 2 shown]
	v_fma_f64 v[46:47], v[66:67], v[28:29], v[46:47]
	v_fma_f64 v[36:37], v[72:73], v[36:37], v[58:59]
	v_fma_f64 v[38:39], v[72:73], v[38:39], -v[60:61]
	s_clause 0x3
	buffer_load_dword v72, off, s[28:31], 0 offset:272
	buffer_load_dword v73, off, s[28:31], 0 offset:276
	;; [unrolled: 1-line block ×4, first 2 shown]
	v_fma_f64 v[48:49], v[66:67], v[30:31], -v[56:57]
	ds_read_b128 v[20:23], v128 offset:13440
	v_mul_f64 v[30:31], v[34:35], s[0:1]
	v_mul_f64 v[28:29], v[32:33], s[0:1]
	;; [unrolled: 1-line block ×6, first 2 shown]
	s_waitcnt vmcnt(0) lgkmcnt(3)
	v_mul_f64 v[50:51], v[74:75], v[18:19]
	v_mul_f64 v[52:53], v[74:75], v[16:17]
	s_clause 0x3
	buffer_load_dword v74, off, s[28:31], 0 offset:288
	buffer_load_dword v75, off, s[28:31], 0 offset:292
	;; [unrolled: 1-line block ×4, first 2 shown]
	ds_read_b128 v[24:27], v128 offset:6272
	s_clause 0x3
	buffer_load_dword v66, off, s[28:31], 0 offset:256
	buffer_load_dword v67, off, s[28:31], 0 offset:260
	;; [unrolled: 1-line block ×4, first 2 shown]
	global_store_dwordx4 v[44:45], v[4:7], off
	v_add_co_u32 v4, vcc_lo, v64, s5
	v_add_co_ci_u32_e32 v5, vcc_lo, s6, v65, vcc_lo
	v_fma_f64 v[16:17], v[72:73], v[16:17], v[50:51]
	v_fma_f64 v[18:19], v[72:73], v[18:19], -v[52:53]
	v_mul_f64 v[6:7], v[18:19], s[0:1]
	s_waitcnt vmcnt(4) lgkmcnt(3)
	v_mul_f64 v[54:55], v[76:77], v[2:3]
	v_mul_f64 v[56:57], v[76:77], v[0:1]
	s_waitcnt vmcnt(0) lgkmcnt(2)
	v_mul_f64 v[58:59], v[68:69], v[10:11]
	v_mul_f64 v[60:61], v[68:69], v[8:9]
	v_fma_f64 v[44:45], v[74:75], v[0:1], v[54:55]
	v_fma_f64 v[46:47], v[74:75], v[2:3], -v[56:57]
	v_fma_f64 v[48:49], v[66:67], v[8:9], v[58:59]
	v_fma_f64 v[50:51], v[66:67], v[10:11], -v[60:61]
	s_clause 0x3
	buffer_load_dword v58, off, s[28:31], 0 offset:240
	buffer_load_dword v59, off, s[28:31], 0 offset:244
	;; [unrolled: 1-line block ×4, first 2 shown]
	v_add_co_u32 v56, vcc_lo, v4, s4
	v_add_co_ci_u32_e32 v57, vcc_lo, s7, v5, vcc_lo
	ds_read_b128 v[0:3], v128 offset:14336
	global_store_dwordx4 v[62:63], v[12:15], off
	global_store_dwordx4 v[64:65], v[28:31], off
	;; [unrolled: 1-line block ×4, first 2 shown]
	v_add_co_u32 v28, vcc_lo, v56, s5
	ds_read_b128 v[8:11], v128 offset:15232
	v_add_co_ci_u32_e32 v29, vcc_lo, s6, v57, vcc_lo
	s_clause 0x3
	buffer_load_dword v63, off, s[28:31], 0 offset:112
	buffer_load_dword v64, off, s[28:31], 0 offset:116
	;; [unrolled: 1-line block ×4, first 2 shown]
	v_mul_f64 v[4:5], v[16:17], s[0:1]
	v_mul_f64 v[12:13], v[44:45], s[0:1]
	;; [unrolled: 1-line block ×5, first 2 shown]
	v_add_co_u32 v46, vcc_lo, v28, s4
	v_add_co_ci_u32_e32 v47, vcc_lo, s7, v29, vcc_lo
	s_waitcnt vmcnt(4) lgkmcnt(3)
	v_mul_f64 v[52:53], v[60:61], v[22:23]
	v_mul_f64 v[54:55], v[60:61], v[20:21]
	s_waitcnt vmcnt(0) lgkmcnt(2)
	v_mul_f64 v[30:31], v[65:66], v[26:27]
	v_mul_f64 v[32:33], v[65:66], v[24:25]
	v_fma_f64 v[20:21], v[58:59], v[20:21], v[52:53]
	v_fma_f64 v[22:23], v[58:59], v[22:23], -v[54:55]
	s_clause 0x3
	buffer_load_dword v55, off, s[28:31], 0 offset:16
	buffer_load_dword v56, off, s[28:31], 0 offset:20
	;; [unrolled: 1-line block ×4, first 2 shown]
	v_add_co_u32 v52, vcc_lo, v46, s5
	v_add_co_ci_u32_e32 v53, vcc_lo, s6, v47, vcc_lo
	v_fma_f64 v[24:25], v[63:64], v[24:25], v[30:31]
	v_fma_f64 v[26:27], v[63:64], v[26:27], -v[32:33]
	s_waitcnt vmcnt(0) lgkmcnt(1)
	v_mul_f64 v[34:35], v[57:58], v[2:3]
	v_mul_f64 v[36:37], v[57:58], v[0:1]
	s_clause 0x3
	buffer_load_dword v57, off, s[28:31], 0 offset:32
	buffer_load_dword v58, off, s[28:31], 0 offset:36
	;; [unrolled: 1-line block ×4, first 2 shown]
	s_waitcnt vmcnt(0)
	v_mul_f64 v[38:39], v[59:60], v[42:43]
	v_mul_f64 v[44:45], v[59:60], v[40:41]
	s_clause 0x4
	buffer_load_dword v59, off, s[28:31], 0 offset:96
	buffer_load_dword v60, off, s[28:31], 0 offset:100
	;; [unrolled: 1-line block ×5, first 2 shown]
	global_store_dwordx4 v[28:29], v[4:7], off
	global_store_dwordx4 v[46:47], v[12:15], off
	;; [unrolled: 1-line block ×3, first 2 shown]
	v_fma_f64 v[12:13], v[55:56], v[0:1], v[34:35]
	v_fma_f64 v[14:15], v[55:56], v[2:3], -v[36:37]
	v_mul_f64 v[4:5], v[20:21], s[0:1]
	v_mul_f64 v[6:7], v[22:23], s[0:1]
	v_add_co_u32 v34, vcc_lo, v52, s4
	v_add_co_ci_u32_e32 v35, vcc_lo, s7, v53, vcc_lo
	v_mul_f64 v[0:1], v[24:25], s[0:1]
	v_mul_f64 v[2:3], v[26:27], s[0:1]
	v_fma_f64 v[17:18], v[57:58], v[40:41], v[38:39]
	v_fma_f64 v[19:20], v[57:58], v[42:43], -v[44:45]
	global_store_dwordx4 v[34:35], v[4:7], off
	s_waitcnt vmcnt(1) lgkmcnt(0)
	v_mul_f64 v[48:49], v[61:62], v[10:11]
	s_waitcnt vmcnt(0)
	v_mad_u64_u32 v[30:31], null, s8, v54, 0
	v_mul_f64 v[50:51], v[61:62], v[8:9]
	v_mov_b32_e32 v16, v31
	buffer_load_dword v31, off, s[28:31], 0 offset:12 ; 4-byte Folded Reload
	v_mad_u64_u32 v[23:24], null, s9, v54, v[16:17]
	v_add_co_u32 v24, vcc_lo, v34, s5
	v_add_co_ci_u32_e32 v25, vcc_lo, s6, v35, vcc_lo
	v_fma_f64 v[28:29], v[59:60], v[8:9], v[48:49]
	v_mad_u64_u32 v[36:37], null, 0x2300, s8, v[24:25]
	v_fma_f64 v[32:33], v[59:60], v[10:11], -v[50:51]
	v_mul_f64 v[10:11], v[14:15], s[0:1]
	v_mul_f64 v[14:15], v[19:20], s[0:1]
	v_mov_b32_e32 v4, v37
	s_waitcnt vmcnt(0)
	v_mad_u64_u32 v[21:22], null, s8, v31, 0
	v_mov_b32_e32 v8, v22
	v_mad_u64_u32 v[26:27], null, s9, v31, v[8:9]
	v_mul_f64 v[8:9], v[12:13], s[0:1]
	v_mov_b32_e32 v31, v23
	v_mul_f64 v[12:13], v[17:18], s[0:1]
	v_mul_f64 v[16:17], v[28:29], s[0:1]
	v_mul_f64 v[18:19], v[32:33], s[0:1]
	v_mov_b32_e32 v22, v26
	v_lshlrev_b64 v[5:6], 4, v[30:31]
	v_lshlrev_b64 v[20:21], 4, v[21:22]
	v_mad_u64_u32 v[22:23], null, 0x2300, s9, v[4:5]
	v_add_co_u32 v4, vcc_lo, v70, v5
	v_add_co_ci_u32_e32 v5, vcc_lo, v71, v6, vcc_lo
	v_add_co_u32 v6, vcc_lo, v70, v20
	v_add_co_ci_u32_e32 v7, vcc_lo, v71, v21, vcc_lo
	v_mov_b32_e32 v37, v22
	global_store_dwordx4 v[24:25], v[0:3], off
	global_store_dwordx4 v[4:5], v[8:11], off
	;; [unrolled: 1-line block ×4, first 2 shown]
.LBB0_10:
	s_endpgm
	.section	.rodata,"a",@progbits
	.p2align	6, 0x0
	.amdhsa_kernel bluestein_single_back_len1008_dim1_dp_op_CI_CI
		.amdhsa_group_segment_fixed_size 16128
		.amdhsa_private_segment_fixed_size 696
		.amdhsa_kernarg_size 104
		.amdhsa_user_sgpr_count 6
		.amdhsa_user_sgpr_private_segment_buffer 1
		.amdhsa_user_sgpr_dispatch_ptr 0
		.amdhsa_user_sgpr_queue_ptr 0
		.amdhsa_user_sgpr_kernarg_segment_ptr 1
		.amdhsa_user_sgpr_dispatch_id 0
		.amdhsa_user_sgpr_flat_scratch_init 0
		.amdhsa_user_sgpr_private_segment_size 0
		.amdhsa_wavefront_size32 1
		.amdhsa_uses_dynamic_stack 0
		.amdhsa_system_sgpr_private_segment_wavefront_offset 1
		.amdhsa_system_sgpr_workgroup_id_x 1
		.amdhsa_system_sgpr_workgroup_id_y 0
		.amdhsa_system_sgpr_workgroup_id_z 0
		.amdhsa_system_sgpr_workgroup_info 0
		.amdhsa_system_vgpr_workitem_id 0
		.amdhsa_next_free_vgpr 256
		.amdhsa_next_free_sgpr 32
		.amdhsa_reserve_vcc 1
		.amdhsa_reserve_flat_scratch 0
		.amdhsa_float_round_mode_32 0
		.amdhsa_float_round_mode_16_64 0
		.amdhsa_float_denorm_mode_32 3
		.amdhsa_float_denorm_mode_16_64 3
		.amdhsa_dx10_clamp 1
		.amdhsa_ieee_mode 1
		.amdhsa_fp16_overflow 0
		.amdhsa_workgroup_processor_mode 1
		.amdhsa_memory_ordered 1
		.amdhsa_forward_progress 0
		.amdhsa_shared_vgpr_count 0
		.amdhsa_exception_fp_ieee_invalid_op 0
		.amdhsa_exception_fp_denorm_src 0
		.amdhsa_exception_fp_ieee_div_zero 0
		.amdhsa_exception_fp_ieee_overflow 0
		.amdhsa_exception_fp_ieee_underflow 0
		.amdhsa_exception_fp_ieee_inexact 0
		.amdhsa_exception_int_div_zero 0
	.end_amdhsa_kernel
	.text
.Lfunc_end0:
	.size	bluestein_single_back_len1008_dim1_dp_op_CI_CI, .Lfunc_end0-bluestein_single_back_len1008_dim1_dp_op_CI_CI
                                        ; -- End function
	.section	.AMDGPU.csdata,"",@progbits
; Kernel info:
; codeLenInByte = 28532
; NumSgprs: 34
; NumVgprs: 256
; ScratchSize: 696
; MemoryBound: 0
; FloatMode: 240
; IeeeMode: 1
; LDSByteSize: 16128 bytes/workgroup (compile time only)
; SGPRBlocks: 4
; VGPRBlocks: 31
; NumSGPRsForWavesPerEU: 34
; NumVGPRsForWavesPerEU: 256
; Occupancy: 4
; WaveLimiterHint : 1
; COMPUTE_PGM_RSRC2:SCRATCH_EN: 1
; COMPUTE_PGM_RSRC2:USER_SGPR: 6
; COMPUTE_PGM_RSRC2:TRAP_HANDLER: 0
; COMPUTE_PGM_RSRC2:TGID_X_EN: 1
; COMPUTE_PGM_RSRC2:TGID_Y_EN: 0
; COMPUTE_PGM_RSRC2:TGID_Z_EN: 0
; COMPUTE_PGM_RSRC2:TIDIG_COMP_CNT: 0
	.text
	.p2alignl 6, 3214868480
	.fill 48, 4, 3214868480
	.type	__hip_cuid_a0b79d9c7448f52d,@object ; @__hip_cuid_a0b79d9c7448f52d
	.section	.bss,"aw",@nobits
	.globl	__hip_cuid_a0b79d9c7448f52d
__hip_cuid_a0b79d9c7448f52d:
	.byte	0                               ; 0x0
	.size	__hip_cuid_a0b79d9c7448f52d, 1

	.ident	"AMD clang version 19.0.0git (https://github.com/RadeonOpenCompute/llvm-project roc-6.4.0 25133 c7fe45cf4b819c5991fe208aaa96edf142730f1d)"
	.section	".note.GNU-stack","",@progbits
	.addrsig
	.addrsig_sym __hip_cuid_a0b79d9c7448f52d
	.amdgpu_metadata
---
amdhsa.kernels:
  - .args:
      - .actual_access:  read_only
        .address_space:  global
        .offset:         0
        .size:           8
        .value_kind:     global_buffer
      - .actual_access:  read_only
        .address_space:  global
        .offset:         8
        .size:           8
        .value_kind:     global_buffer
      - .actual_access:  read_only
        .address_space:  global
        .offset:         16
        .size:           8
        .value_kind:     global_buffer
      - .actual_access:  read_only
        .address_space:  global
        .offset:         24
        .size:           8
        .value_kind:     global_buffer
      - .actual_access:  read_only
        .address_space:  global
        .offset:         32
        .size:           8
        .value_kind:     global_buffer
      - .offset:         40
        .size:           8
        .value_kind:     by_value
      - .address_space:  global
        .offset:         48
        .size:           8
        .value_kind:     global_buffer
      - .address_space:  global
        .offset:         56
        .size:           8
        .value_kind:     global_buffer
      - .address_space:  global
        .offset:         64
        .size:           8
        .value_kind:     global_buffer
      - .address_space:  global
        .offset:         72
        .size:           8
        .value_kind:     global_buffer
      - .offset:         80
        .size:           4
        .value_kind:     by_value
      - .address_space:  global
        .offset:         88
        .size:           8
        .value_kind:     global_buffer
      - .address_space:  global
        .offset:         96
        .size:           8
        .value_kind:     global_buffer
    .group_segment_fixed_size: 16128
    .kernarg_segment_align: 8
    .kernarg_segment_size: 104
    .language:       OpenCL C
    .language_version:
      - 2
      - 0
    .max_flat_workgroup_size: 56
    .name:           bluestein_single_back_len1008_dim1_dp_op_CI_CI
    .private_segment_fixed_size: 696
    .sgpr_count:     34
    .sgpr_spill_count: 0
    .symbol:         bluestein_single_back_len1008_dim1_dp_op_CI_CI.kd
    .uniform_work_group_size: 1
    .uses_dynamic_stack: false
    .vgpr_count:     256
    .vgpr_spill_count: 173
    .wavefront_size: 32
    .workgroup_processor_mode: 1
amdhsa.target:   amdgcn-amd-amdhsa--gfx1030
amdhsa.version:
  - 1
  - 2
...

	.end_amdgpu_metadata
